;; amdgpu-corpus repo=ROCm/rocFFT kind=compiled arch=gfx1100 opt=O3
	.text
	.amdgcn_target "amdgcn-amd-amdhsa--gfx1100"
	.amdhsa_code_object_version 6
	.protected	fft_rtc_fwd_len1680_factors_2_2_2_2_3_7_5_wgs_112_tpt_112_halfLds_dp_ip_CI_unitstride_sbrr_R2C_dirReg ; -- Begin function fft_rtc_fwd_len1680_factors_2_2_2_2_3_7_5_wgs_112_tpt_112_halfLds_dp_ip_CI_unitstride_sbrr_R2C_dirReg
	.globl	fft_rtc_fwd_len1680_factors_2_2_2_2_3_7_5_wgs_112_tpt_112_halfLds_dp_ip_CI_unitstride_sbrr_R2C_dirReg
	.p2align	8
	.type	fft_rtc_fwd_len1680_factors_2_2_2_2_3_7_5_wgs_112_tpt_112_halfLds_dp_ip_CI_unitstride_sbrr_R2C_dirReg,@function
fft_rtc_fwd_len1680_factors_2_2_2_2_3_7_5_wgs_112_tpt_112_halfLds_dp_ip_CI_unitstride_sbrr_R2C_dirReg: ; @fft_rtc_fwd_len1680_factors_2_2_2_2_3_7_5_wgs_112_tpt_112_halfLds_dp_ip_CI_unitstride_sbrr_R2C_dirReg
; %bb.0:
	s_clause 0x2
	s_load_b128 s[4:7], s[0:1], 0x0
	s_load_b64 s[8:9], s[0:1], 0x50
	s_load_b64 s[10:11], s[0:1], 0x18
	v_mul_u32_u24_e32 v1, 0x24a, v0
	v_mov_b32_e32 v3, 0
	v_mov_b32_e32 v4, 0
	s_delay_alu instid0(VALU_DEP_3) | instskip(SKIP_1) | instid1(VALU_DEP_1)
	v_lshrrev_b32_e32 v2, 16, v1
	v_mov_b32_e32 v1, 0
	v_dual_mov_b32 v6, v1 :: v_dual_add_nc_u32 v5, s15, v2
	s_waitcnt lgkmcnt(0)
	v_cmp_lt_u64_e64 s2, s[6:7], 2
	s_delay_alu instid0(VALU_DEP_1)
	s_and_b32 vcc_lo, exec_lo, s2
	s_cbranch_vccnz .LBB0_8
; %bb.1:
	s_load_b64 s[2:3], s[0:1], 0x10
	v_mov_b32_e32 v3, 0
	s_add_u32 s12, s10, 8
	v_mov_b32_e32 v4, 0
	s_addc_u32 s13, s11, 0
	s_mov_b64 s[16:17], 1
	s_waitcnt lgkmcnt(0)
	s_add_u32 s14, s2, 8
	s_addc_u32 s15, s3, 0
.LBB0_2:                                ; =>This Inner Loop Header: Depth=1
	s_load_b64 s[18:19], s[14:15], 0x0
                                        ; implicit-def: $vgpr7_vgpr8
	s_mov_b32 s2, exec_lo
	s_waitcnt lgkmcnt(0)
	v_or_b32_e32 v2, s19, v6
	s_delay_alu instid0(VALU_DEP_1)
	v_cmpx_ne_u64_e32 0, v[1:2]
	s_xor_b32 s3, exec_lo, s2
	s_cbranch_execz .LBB0_4
; %bb.3:                                ;   in Loop: Header=BB0_2 Depth=1
	v_cvt_f32_u32_e32 v2, s18
	v_cvt_f32_u32_e32 v7, s19
	s_sub_u32 s2, 0, s18
	s_subb_u32 s20, 0, s19
	s_delay_alu instid0(VALU_DEP_1) | instskip(NEXT) | instid1(VALU_DEP_1)
	v_fmac_f32_e32 v2, 0x4f800000, v7
	v_rcp_f32_e32 v2, v2
	s_waitcnt_depctr 0xfff
	v_mul_f32_e32 v2, 0x5f7ffffc, v2
	s_delay_alu instid0(VALU_DEP_1) | instskip(NEXT) | instid1(VALU_DEP_1)
	v_mul_f32_e32 v7, 0x2f800000, v2
	v_trunc_f32_e32 v7, v7
	s_delay_alu instid0(VALU_DEP_1) | instskip(SKIP_1) | instid1(VALU_DEP_2)
	v_fmac_f32_e32 v2, 0xcf800000, v7
	v_cvt_u32_f32_e32 v7, v7
	v_cvt_u32_f32_e32 v2, v2
	s_delay_alu instid0(VALU_DEP_2) | instskip(NEXT) | instid1(VALU_DEP_2)
	v_mul_lo_u32 v8, s2, v7
	v_mul_hi_u32 v9, s2, v2
	v_mul_lo_u32 v10, s20, v2
	s_delay_alu instid0(VALU_DEP_2) | instskip(SKIP_1) | instid1(VALU_DEP_2)
	v_add_nc_u32_e32 v8, v9, v8
	v_mul_lo_u32 v9, s2, v2
	v_add_nc_u32_e32 v8, v8, v10
	s_delay_alu instid0(VALU_DEP_2) | instskip(NEXT) | instid1(VALU_DEP_2)
	v_mul_hi_u32 v10, v2, v9
	v_mul_lo_u32 v11, v2, v8
	v_mul_hi_u32 v12, v2, v8
	v_mul_hi_u32 v13, v7, v9
	v_mul_lo_u32 v9, v7, v9
	v_mul_hi_u32 v14, v7, v8
	v_mul_lo_u32 v8, v7, v8
	v_add_co_u32 v10, vcc_lo, v10, v11
	v_add_co_ci_u32_e32 v11, vcc_lo, 0, v12, vcc_lo
	s_delay_alu instid0(VALU_DEP_2) | instskip(NEXT) | instid1(VALU_DEP_2)
	v_add_co_u32 v9, vcc_lo, v10, v9
	v_add_co_ci_u32_e32 v9, vcc_lo, v11, v13, vcc_lo
	v_add_co_ci_u32_e32 v10, vcc_lo, 0, v14, vcc_lo
	s_delay_alu instid0(VALU_DEP_2) | instskip(NEXT) | instid1(VALU_DEP_2)
	v_add_co_u32 v8, vcc_lo, v9, v8
	v_add_co_ci_u32_e32 v9, vcc_lo, 0, v10, vcc_lo
	s_delay_alu instid0(VALU_DEP_2) | instskip(NEXT) | instid1(VALU_DEP_2)
	v_add_co_u32 v2, vcc_lo, v2, v8
	v_add_co_ci_u32_e32 v7, vcc_lo, v7, v9, vcc_lo
	s_delay_alu instid0(VALU_DEP_2) | instskip(SKIP_1) | instid1(VALU_DEP_3)
	v_mul_hi_u32 v8, s2, v2
	v_mul_lo_u32 v10, s20, v2
	v_mul_lo_u32 v9, s2, v7
	s_delay_alu instid0(VALU_DEP_1) | instskip(SKIP_1) | instid1(VALU_DEP_2)
	v_add_nc_u32_e32 v8, v8, v9
	v_mul_lo_u32 v9, s2, v2
	v_add_nc_u32_e32 v8, v8, v10
	s_delay_alu instid0(VALU_DEP_2) | instskip(NEXT) | instid1(VALU_DEP_2)
	v_mul_hi_u32 v10, v2, v9
	v_mul_lo_u32 v11, v2, v8
	v_mul_hi_u32 v12, v2, v8
	v_mul_hi_u32 v13, v7, v9
	v_mul_lo_u32 v9, v7, v9
	v_mul_hi_u32 v14, v7, v8
	v_mul_lo_u32 v8, v7, v8
	v_add_co_u32 v10, vcc_lo, v10, v11
	v_add_co_ci_u32_e32 v11, vcc_lo, 0, v12, vcc_lo
	s_delay_alu instid0(VALU_DEP_2) | instskip(NEXT) | instid1(VALU_DEP_2)
	v_add_co_u32 v9, vcc_lo, v10, v9
	v_add_co_ci_u32_e32 v9, vcc_lo, v11, v13, vcc_lo
	v_add_co_ci_u32_e32 v10, vcc_lo, 0, v14, vcc_lo
	s_delay_alu instid0(VALU_DEP_2) | instskip(NEXT) | instid1(VALU_DEP_2)
	v_add_co_u32 v8, vcc_lo, v9, v8
	v_add_co_ci_u32_e32 v9, vcc_lo, 0, v10, vcc_lo
	s_delay_alu instid0(VALU_DEP_2) | instskip(NEXT) | instid1(VALU_DEP_2)
	v_add_co_u32 v2, vcc_lo, v2, v8
	v_add_co_ci_u32_e32 v13, vcc_lo, v7, v9, vcc_lo
	s_delay_alu instid0(VALU_DEP_2) | instskip(SKIP_1) | instid1(VALU_DEP_3)
	v_mul_hi_u32 v14, v5, v2
	v_mad_u64_u32 v[9:10], null, v6, v2, 0
	v_mad_u64_u32 v[7:8], null, v5, v13, 0
	;; [unrolled: 1-line block ×3, first 2 shown]
	s_delay_alu instid0(VALU_DEP_2) | instskip(NEXT) | instid1(VALU_DEP_3)
	v_add_co_u32 v2, vcc_lo, v14, v7
	v_add_co_ci_u32_e32 v7, vcc_lo, 0, v8, vcc_lo
	s_delay_alu instid0(VALU_DEP_2) | instskip(NEXT) | instid1(VALU_DEP_2)
	v_add_co_u32 v2, vcc_lo, v2, v9
	v_add_co_ci_u32_e32 v2, vcc_lo, v7, v10, vcc_lo
	v_add_co_ci_u32_e32 v7, vcc_lo, 0, v12, vcc_lo
	s_delay_alu instid0(VALU_DEP_2) | instskip(NEXT) | instid1(VALU_DEP_2)
	v_add_co_u32 v2, vcc_lo, v2, v11
	v_add_co_ci_u32_e32 v9, vcc_lo, 0, v7, vcc_lo
	s_delay_alu instid0(VALU_DEP_2) | instskip(SKIP_1) | instid1(VALU_DEP_3)
	v_mul_lo_u32 v10, s19, v2
	v_mad_u64_u32 v[7:8], null, s18, v2, 0
	v_mul_lo_u32 v11, s18, v9
	s_delay_alu instid0(VALU_DEP_2) | instskip(NEXT) | instid1(VALU_DEP_2)
	v_sub_co_u32 v7, vcc_lo, v5, v7
	v_add3_u32 v8, v8, v11, v10
	s_delay_alu instid0(VALU_DEP_1) | instskip(NEXT) | instid1(VALU_DEP_1)
	v_sub_nc_u32_e32 v10, v6, v8
	v_subrev_co_ci_u32_e64 v10, s2, s19, v10, vcc_lo
	v_add_co_u32 v11, s2, v2, 2
	s_delay_alu instid0(VALU_DEP_1) | instskip(SKIP_3) | instid1(VALU_DEP_3)
	v_add_co_ci_u32_e64 v12, s2, 0, v9, s2
	v_sub_co_u32 v13, s2, v7, s18
	v_sub_co_ci_u32_e32 v8, vcc_lo, v6, v8, vcc_lo
	v_subrev_co_ci_u32_e64 v10, s2, 0, v10, s2
	v_cmp_le_u32_e32 vcc_lo, s18, v13
	s_delay_alu instid0(VALU_DEP_3) | instskip(SKIP_1) | instid1(VALU_DEP_4)
	v_cmp_eq_u32_e64 s2, s19, v8
	v_cndmask_b32_e64 v13, 0, -1, vcc_lo
	v_cmp_le_u32_e32 vcc_lo, s19, v10
	v_cndmask_b32_e64 v14, 0, -1, vcc_lo
	v_cmp_le_u32_e32 vcc_lo, s18, v7
	;; [unrolled: 2-line block ×3, first 2 shown]
	v_cndmask_b32_e64 v15, 0, -1, vcc_lo
	v_cmp_eq_u32_e32 vcc_lo, s19, v10
	s_delay_alu instid0(VALU_DEP_2) | instskip(SKIP_3) | instid1(VALU_DEP_3)
	v_cndmask_b32_e64 v7, v15, v7, s2
	v_cndmask_b32_e32 v10, v14, v13, vcc_lo
	v_add_co_u32 v13, vcc_lo, v2, 1
	v_add_co_ci_u32_e32 v14, vcc_lo, 0, v9, vcc_lo
	v_cmp_ne_u32_e32 vcc_lo, 0, v10
	s_delay_alu instid0(VALU_DEP_2) | instskip(NEXT) | instid1(VALU_DEP_4)
	v_cndmask_b32_e32 v8, v14, v12, vcc_lo
	v_cndmask_b32_e32 v10, v13, v11, vcc_lo
	v_cmp_ne_u32_e32 vcc_lo, 0, v7
	s_delay_alu instid0(VALU_DEP_2)
	v_dual_cndmask_b32 v7, v2, v10 :: v_dual_cndmask_b32 v8, v9, v8
.LBB0_4:                                ;   in Loop: Header=BB0_2 Depth=1
	s_and_not1_saveexec_b32 s2, s3
	s_cbranch_execz .LBB0_6
; %bb.5:                                ;   in Loop: Header=BB0_2 Depth=1
	v_cvt_f32_u32_e32 v2, s18
	s_sub_i32 s3, 0, s18
	s_delay_alu instid0(VALU_DEP_1) | instskip(SKIP_2) | instid1(VALU_DEP_1)
	v_rcp_iflag_f32_e32 v2, v2
	s_waitcnt_depctr 0xfff
	v_mul_f32_e32 v2, 0x4f7ffffe, v2
	v_cvt_u32_f32_e32 v2, v2
	s_delay_alu instid0(VALU_DEP_1) | instskip(NEXT) | instid1(VALU_DEP_1)
	v_mul_lo_u32 v7, s3, v2
	v_mul_hi_u32 v7, v2, v7
	s_delay_alu instid0(VALU_DEP_1) | instskip(NEXT) | instid1(VALU_DEP_1)
	v_add_nc_u32_e32 v2, v2, v7
	v_mul_hi_u32 v2, v5, v2
	s_delay_alu instid0(VALU_DEP_1) | instskip(SKIP_1) | instid1(VALU_DEP_2)
	v_mul_lo_u32 v7, v2, s18
	v_add_nc_u32_e32 v8, 1, v2
	v_sub_nc_u32_e32 v7, v5, v7
	s_delay_alu instid0(VALU_DEP_1) | instskip(SKIP_1) | instid1(VALU_DEP_2)
	v_subrev_nc_u32_e32 v9, s18, v7
	v_cmp_le_u32_e32 vcc_lo, s18, v7
	v_dual_cndmask_b32 v7, v7, v9 :: v_dual_cndmask_b32 v2, v2, v8
	s_delay_alu instid0(VALU_DEP_1) | instskip(NEXT) | instid1(VALU_DEP_2)
	v_cmp_le_u32_e32 vcc_lo, s18, v7
	v_add_nc_u32_e32 v8, 1, v2
	s_delay_alu instid0(VALU_DEP_1)
	v_dual_cndmask_b32 v7, v2, v8 :: v_dual_mov_b32 v8, v1
.LBB0_6:                                ;   in Loop: Header=BB0_2 Depth=1
	s_or_b32 exec_lo, exec_lo, s2
	s_load_b64 s[2:3], s[12:13], 0x0
	s_delay_alu instid0(VALU_DEP_1) | instskip(NEXT) | instid1(VALU_DEP_2)
	v_mul_lo_u32 v2, v8, s18
	v_mul_lo_u32 v11, v7, s19
	v_mad_u64_u32 v[9:10], null, v7, s18, 0
	s_add_u32 s16, s16, 1
	s_addc_u32 s17, s17, 0
	s_add_u32 s12, s12, 8
	s_addc_u32 s13, s13, 0
	;; [unrolled: 2-line block ×3, first 2 shown]
	s_delay_alu instid0(VALU_DEP_1) | instskip(SKIP_1) | instid1(VALU_DEP_2)
	v_add3_u32 v2, v10, v11, v2
	v_sub_co_u32 v9, vcc_lo, v5, v9
	v_sub_co_ci_u32_e32 v2, vcc_lo, v6, v2, vcc_lo
	s_waitcnt lgkmcnt(0)
	s_delay_alu instid0(VALU_DEP_2) | instskip(NEXT) | instid1(VALU_DEP_2)
	v_mul_lo_u32 v10, s3, v9
	v_mul_lo_u32 v2, s2, v2
	v_mad_u64_u32 v[5:6], null, s2, v9, v[3:4]
	v_cmp_ge_u64_e64 s2, s[16:17], s[6:7]
	s_delay_alu instid0(VALU_DEP_1) | instskip(NEXT) | instid1(VALU_DEP_2)
	s_and_b32 vcc_lo, exec_lo, s2
	v_add3_u32 v4, v10, v6, v2
	s_delay_alu instid0(VALU_DEP_3)
	v_mov_b32_e32 v3, v5
	s_cbranch_vccnz .LBB0_9
; %bb.7:                                ;   in Loop: Header=BB0_2 Depth=1
	v_dual_mov_b32 v5, v7 :: v_dual_mov_b32 v6, v8
	s_branch .LBB0_2
.LBB0_8:
	v_dual_mov_b32 v8, v6 :: v_dual_mov_b32 v7, v5
.LBB0_9:
	s_lshl_b64 s[2:3], s[6:7], 3
	v_mul_hi_u32 v1, 0x2492493, v0
	s_add_u32 s2, s10, s2
	s_addc_u32 s3, s11, s3
	s_load_b64 s[0:1], s[0:1], 0x20
	s_load_b64 s[2:3], s[2:3], 0x0
	s_delay_alu instid0(VALU_DEP_1) | instskip(NEXT) | instid1(VALU_DEP_1)
	v_mul_u32_u24_e32 v1, 0x70, v1
	v_sub_nc_u32_e32 v84, v0, v1
	s_delay_alu instid0(VALU_DEP_1)
	v_add_nc_u32_e32 v91, 0x70, v84
	v_add_nc_u32_e32 v97, 0xe0, v84
	;; [unrolled: 1-line block ×5, first 2 shown]
	s_waitcnt lgkmcnt(0)
	v_cmp_gt_u64_e32 vcc_lo, s[0:1], v[7:8]
	v_mul_lo_u32 v2, s2, v8
	v_mul_lo_u32 v5, s3, v7
	v_mad_u64_u32 v[0:1], null, s2, v7, v[3:4]
	v_cmp_le_u64_e64 s0, s[0:1], v[7:8]
	v_add_nc_u32_e32 v93, 0x2a0, v84
	v_add_nc_u32_e32 v90, 0x310, v84
	s_delay_alu instid0(VALU_DEP_4) | instskip(NEXT) | instid1(VALU_DEP_4)
	v_add3_u32 v1, v5, v1, v2
	s_and_saveexec_b32 s1, s0
	s_delay_alu instid0(SALU_CYCLE_1)
	s_xor_b32 s0, exec_lo, s1
; %bb.10:
	v_add_nc_u32_e32 v91, 0x70, v84
	v_add_nc_u32_e32 v97, 0xe0, v84
	;; [unrolled: 1-line block ×7, first 2 shown]
; %bb.11:
	s_or_saveexec_b32 s1, s0
	v_lshlrev_b64 v[88:89], 4, v[0:1]
	v_or_b32_e32 v86, 0x380, v84
	s_xor_b32 exec_lo, exec_lo, s1
	s_cbranch_execz .LBB0_13
; %bb.12:
	v_mov_b32_e32 v85, 0
	s_delay_alu instid0(VALU_DEP_3) | instskip(NEXT) | instid1(VALU_DEP_1)
	v_add_co_u32 v20, s0, s8, v88
	v_add_co_ci_u32_e64 v21, s0, s9, v89, s0
	s_delay_alu instid0(VALU_DEP_3) | instskip(SKIP_2) | instid1(VALU_DEP_2)
	v_lshlrev_b64 v[0:1], 4, v[84:85]
	v_mov_b32_e32 v87, v85
	v_lshl_add_u32 v60, v84, 4, 0
	v_lshlrev_b64 v[18:19], 4, v[86:87]
	s_delay_alu instid0(VALU_DEP_4) | instskip(NEXT) | instid1(VALU_DEP_1)
	v_add_co_u32 v40, s0, v20, v0
	v_add_co_ci_u32_e64 v41, s0, v21, v1, s0
	s_delay_alu instid0(VALU_DEP_2) | instskip(NEXT) | instid1(VALU_DEP_1)
	v_add_co_u32 v16, s0, 0x1000, v40
	v_add_co_ci_u32_e64 v17, s0, 0, v41, s0
	v_add_co_u32 v24, s0, 0x2000, v40
	s_delay_alu instid0(VALU_DEP_1) | instskip(SKIP_1) | instid1(VALU_DEP_1)
	v_add_co_ci_u32_e64 v25, s0, 0, v41, s0
	v_add_co_u32 v36, s0, 0x3000, v40
	v_add_co_ci_u32_e64 v37, s0, 0, v41, s0
	v_add_co_u32 v32, s0, v20, v18
	s_delay_alu instid0(VALU_DEP_1) | instskip(SKIP_1) | instid1(VALU_DEP_1)
	v_add_co_ci_u32_e64 v33, s0, v21, v19, s0
	;; [unrolled: 5-line block ×3, first 2 shown]
	v_add_co_u32 v56, s0, 0x6000, v40
	v_add_co_ci_u32_e64 v57, s0, 0, v41, s0
	s_clause 0xe
	global_load_b128 v[0:3], v[40:41], off
	global_load_b128 v[4:7], v[40:41], off offset:1792
	global_load_b128 v[8:11], v[40:41], off offset:3584
	;; [unrolled: 1-line block ×7, first 2 shown]
	global_load_b128 v[32:35], v[32:33], off
	global_load_b128 v[36:39], v[36:37], off offset:3840
	global_load_b128 v[40:43], v[44:45], off offset:1536
	;; [unrolled: 1-line block ×6, first 2 shown]
	s_waitcnt vmcnt(14)
	ds_store_b128 v60, v[0:3]
	s_waitcnt vmcnt(13)
	ds_store_b128 v60, v[4:7] offset:1792
	s_waitcnt vmcnt(12)
	ds_store_b128 v60, v[8:11] offset:3584
	s_waitcnt vmcnt(11)
	ds_store_b128 v60, v[12:15] offset:5376
	s_waitcnt vmcnt(10)
	ds_store_b128 v60, v[16:19] offset:7168
	s_waitcnt vmcnt(9)
	ds_store_b128 v60, v[20:23] offset:8960
	s_waitcnt vmcnt(8)
	ds_store_b128 v60, v[24:27] offset:10752
	s_waitcnt vmcnt(7)
	ds_store_b128 v60, v[28:31] offset:12544
	s_waitcnt vmcnt(6)
	ds_store_b128 v60, v[32:35] offset:14336
	s_waitcnt vmcnt(5)
	ds_store_b128 v60, v[36:39] offset:16128
	s_waitcnt vmcnt(4)
	ds_store_b128 v60, v[40:43] offset:17920
	s_waitcnt vmcnt(3)
	ds_store_b128 v60, v[44:47] offset:19712
	s_waitcnt vmcnt(2)
	ds_store_b128 v60, v[48:51] offset:21504
	s_waitcnt vmcnt(1)
	ds_store_b128 v60, v[52:55] offset:23296
	s_waitcnt vmcnt(0)
	ds_store_b128 v60, v[56:59] offset:25088
.LBB0_13:
	s_or_b32 exec_lo, exec_lo, s1
	v_lshlrev_b32_e32 v85, 4, v84
	s_waitcnt lgkmcnt(0)
	s_barrier
	buffer_gl0_inv
	v_lshl_add_u32 v72, v91, 5, 0
	v_add_nc_u32_e32 v99, 0, v85
	v_lshl_add_u32 v73, v97, 5, 0
	v_lshl_add_u32 v74, v96, 5, 0
	;; [unrolled: 1-line block ×4, first 2 shown]
	ds_load_b128 v[0:3], v99 offset:13440
	ds_load_b128 v[8:11], v99
	ds_load_b128 v[12:15], v99 offset:1792
	ds_load_b128 v[4:7], v99 offset:15232
	;; [unrolled: 1-line block ×14, first 2 shown]
	v_lshl_add_u32 v77, v93, 5, 0
	v_cmp_gt_u32_e64 s0, 56, v84
	s_waitcnt lgkmcnt(0)
	s_barrier
	buffer_gl0_inv
	v_add_f64 v[64:65], v[8:9], -v[0:1]
	v_add_f64 v[66:67], v[10:11], -v[2:3]
	;; [unrolled: 1-line block ×16, first 2 shown]
	v_fma_f64 v[8:9], v[8:9], 2.0, -v[64:65]
	v_fma_f64 v[10:11], v[10:11], 2.0, -v[66:67]
	;; [unrolled: 1-line block ×16, first 2 shown]
	v_add_nc_u32_e32 v56, v99, v85
	ds_store_b128 v56, v[8:11]
	ds_store_b128 v56, v[64:67] offset:16
	ds_store_b128 v72, v[12:15]
	ds_store_b128 v72, v[68:71] offset:16
	;; [unrolled: 2-line block ×7, first 2 shown]
	s_and_saveexec_b32 s1, s0
	s_cbranch_execz .LBB0_15
; %bb.14:
	v_lshl_add_u32 v8, v90, 5, 0
	ds_store_b128 v8, v[0:3]
	ds_store_b128 v8, v[4:7] offset:16
.LBB0_15:
	s_or_b32 exec_lo, exec_lo, s1
	v_lshlrev_b32_e32 v71, 4, v91
	v_lshlrev_b32_e32 v70, 4, v96
	;; [unrolled: 1-line block ×6, first 2 shown]
	v_sub_nc_u32_e32 v12, v72, v71
	v_sub_nc_u32_e32 v20, v74, v70
	;; [unrolled: 1-line block ×6, first 2 shown]
	s_waitcnt lgkmcnt(0)
	s_barrier
	buffer_gl0_inv
	ds_load_b128 v[8:11], v99
	ds_load_b128 v[36:39], v99 offset:13440
	ds_load_b128 v[16:19], v12
	ds_load_b128 v[12:15], v13
	ds_load_b128 v[44:47], v99 offset:15232
	ds_load_b128 v[40:43], v99 offset:17024
	ds_load_b128 v[28:31], v20
	ds_load_b128 v[20:23], v21
	ds_load_b128 v[56:59], v99 offset:18816
	;; [unrolled: 4-line block ×3, first 2 shown]
	ds_load_b128 v[52:55], v99 offset:24192
	v_lshlrev_b32_e32 v69, 1, v91
	v_lshlrev_b32_e32 v68, 1, v97
	;; [unrolled: 1-line block ×6, first 2 shown]
	v_lshl_add_u32 v87, v90, 4, 0
	s_and_saveexec_b32 s1, s0
	s_cbranch_execz .LBB0_17
; %bb.16:
	ds_load_b128 v[0:3], v87
	ds_load_b128 v[4:7], v99 offset:25984
.LBB0_17:
	s_or_b32 exec_lo, exec_lo, s1
	v_and_b32_e32 v82, 1, v84
	s_delay_alu instid0(VALU_DEP_1)
	v_lshlrev_b32_e32 v83, 4, v82
	global_load_b128 v[100:103], v83, s[4:5]
	v_and_or_b32 v83, 0x7fc, v64, v82
	s_waitcnt vmcnt(0) lgkmcnt(0)
	s_barrier
	buffer_gl0_inv
	v_lshl_add_u32 v83, v83, 4, 0
	v_mul_f64 v[104:105], v[38:39], v[102:103]
	v_mul_f64 v[106:107], v[36:37], v[102:103]
	;; [unrolled: 1-line block ×16, first 2 shown]
	v_fma_f64 v[36:37], v[36:37], v[100:101], -v[104:105]
	v_fma_f64 v[104:105], v[38:39], v[100:101], v[106:107]
	v_fma_f64 v[44:45], v[44:45], v[100:101], -v[108:109]
	v_fma_f64 v[46:47], v[46:47], v[100:101], v[110:111]
	;; [unrolled: 2-line block ×8, first 2 shown]
	v_add_f64 v[38:39], v[8:9], -v[36:37]
	v_add_f64 v[40:41], v[10:11], -v[104:105]
	;; [unrolled: 1-line block ×16, first 2 shown]
	v_sub_nc_u32_e32 v37, 0, v71
	v_lshlrev_b32_e32 v71, 1, v84
	v_and_or_b32 v63, 0x1fc, v69, v82
	v_sub_nc_u32_e32 v36, 0, v79
	v_and_or_b32 v79, 0x3fc, v67, v82
	s_delay_alu instid0(VALU_DEP_4) | instskip(NEXT) | instid1(VALU_DEP_4)
	v_and_or_b32 v62, 0xfc, v71, v82
	v_lshl_add_u32 v63, v63, 4, 0
	s_delay_alu instid0(VALU_DEP_3) | instskip(NEXT) | instid1(VALU_DEP_3)
	v_lshl_add_u32 v79, v79, 4, 0
	v_lshl_add_u32 v62, v62, 4, 0
	v_fma_f64 v[8:9], v[8:9], 2.0, -v[38:39]
	v_fma_f64 v[10:11], v[10:11], 2.0, -v[40:41]
	;; [unrolled: 1-line block ×16, first 2 shown]
	v_sub_nc_u32_e32 v26, 0, v78
	v_and_or_b32 v78, 0x3fc, v68, v82
	v_sub_nc_u32_e32 v27, 0, v70
	v_sub_nc_u32_e32 v25, 0, v80
	;; [unrolled: 1-line block ×3, first 2 shown]
	v_lshlrev_b32_e32 v70, 1, v90
	v_and_or_b32 v80, 0x7fc, v66, v82
	v_and_or_b32 v81, 0x5fc, v65, v82
	v_lshl_add_u32 v78, v78, 4, 0
	s_delay_alu instid0(VALU_DEP_3) | instskip(NEXT) | instid1(VALU_DEP_3)
	v_lshl_add_u32 v80, v80, 4, 0
	v_lshl_add_u32 v81, v81, 4, 0
	ds_store_b128 v62, v[8:11]
	ds_store_b128 v62, v[38:41] offset:32
	ds_store_b128 v63, v[16:19]
	ds_store_b128 v63, v[42:45] offset:32
	;; [unrolled: 2-line block ×7, first 2 shown]
	s_and_saveexec_b32 s1, s0
	s_cbranch_execz .LBB0_19
; %bb.18:
	v_and_or_b32 v8, 0x6fc, v70, v82
	s_delay_alu instid0(VALU_DEP_1)
	v_lshl_add_u32 v8, v8, 4, 0
	ds_store_b128 v8, v[0:3]
	ds_store_b128 v8, v[4:7] offset:32
.LBB0_19:
	s_or_b32 exec_lo, exec_lo, s1
	v_add_nc_u32_e32 v103, v74, v27
	v_add_nc_u32_e32 v102, v75, v26
	;; [unrolled: 1-line block ×5, first 2 shown]
	s_waitcnt lgkmcnt(0)
	s_barrier
	buffer_gl0_inv
	ds_load_b128 v[16:19], v99
	ds_load_b128 v[8:11], v99 offset:13440
	ds_load_b128 v[20:23], v105
	ds_load_b128 v[12:15], v104
	ds_load_b128 v[44:47], v99 offset:15232
	ds_load_b128 v[40:43], v99 offset:17024
	v_add_nc_u32_e32 v100, v77, v24
	ds_load_b128 v[32:35], v103
	ds_load_b128 v[24:27], v102
	ds_load_b128 v[56:59], v99 offset:18816
	ds_load_b128 v[48:51], v99 offset:20608
	ds_load_b128 v[36:39], v101
	ds_load_b128 v[28:31], v100
	ds_load_b128 v[60:63], v99 offset:22400
	ds_load_b128 v[52:55], v99 offset:24192
	s_and_saveexec_b32 s1, s0
	s_cbranch_execz .LBB0_21
; %bb.20:
	ds_load_b128 v[0:3], v87
	ds_load_b128 v[4:7], v99 offset:25984
.LBB0_21:
	s_or_b32 exec_lo, exec_lo, s1
	v_and_b32_e32 v72, 3, v84
	s_delay_alu instid0(VALU_DEP_1)
	v_lshlrev_b32_e32 v73, 4, v72
	global_load_b128 v[73:76], v73, s[4:5] offset:32
	s_waitcnt vmcnt(0) lgkmcnt(0)
	s_barrier
	buffer_gl0_inv
	v_mul_f64 v[77:78], v[10:11], v[75:76]
	v_mul_f64 v[79:80], v[8:9], v[75:76]
	;; [unrolled: 1-line block ×16, first 2 shown]
	v_fma_f64 v[8:9], v[8:9], v[73:74], -v[77:78]
	v_fma_f64 v[10:11], v[10:11], v[73:74], v[79:80]
	v_fma_f64 v[44:45], v[44:45], v[73:74], -v[81:82]
	v_fma_f64 v[46:47], v[46:47], v[73:74], v[106:107]
	;; [unrolled: 2-line block ×8, first 2 shown]
	v_add_f64 v[40:41], v[16:17], -v[8:9]
	v_add_f64 v[42:43], v[18:19], -v[10:11]
	;; [unrolled: 1-line block ×16, first 2 shown]
	v_and_or_b32 v77, 0x7f8, v66, v72
	v_and_or_b32 v78, 0x5f8, v65, v72
	;; [unrolled: 1-line block ×3, first 2 shown]
	s_delay_alu instid0(VALU_DEP_3) | instskip(NEXT) | instid1(VALU_DEP_3)
	v_lshl_add_u32 v77, v77, 4, 0
	v_lshl_add_u32 v78, v78, 4, 0
	s_delay_alu instid0(VALU_DEP_3)
	v_lshl_add_u32 v79, v79, 4, 0
	v_fma_f64 v[16:17], v[16:17], 2.0, -v[40:41]
	v_fma_f64 v[18:19], v[18:19], 2.0, -v[42:43]
	;; [unrolled: 1-line block ×16, first 2 shown]
	v_and_or_b32 v0, 0xf8, v71, v72
	v_and_or_b32 v1, 0x1f8, v69, v72
	;; [unrolled: 1-line block ×4, first 2 shown]
	s_delay_alu instid0(VALU_DEP_4) | instskip(NEXT) | instid1(VALU_DEP_4)
	v_lshl_add_u32 v0, v0, 4, 0
	v_lshl_add_u32 v1, v1, 4, 0
	s_delay_alu instid0(VALU_DEP_4) | instskip(NEXT) | instid1(VALU_DEP_4)
	v_lshl_add_u32 v2, v2, 4, 0
	v_lshl_add_u32 v3, v3, 4, 0
	ds_store_b128 v0, v[16:19]
	ds_store_b128 v0, v[40:43] offset:64
	ds_store_b128 v1, v[20:23]
	ds_store_b128 v1, v[44:47] offset:64
	;; [unrolled: 2-line block ×7, first 2 shown]
	s_and_saveexec_b32 s1, s0
	s_cbranch_execz .LBB0_23
; %bb.22:
	v_and_or_b32 v0, 0x6f8, v70, v72
	s_delay_alu instid0(VALU_DEP_1)
	v_lshl_add_u32 v0, v0, 4, 0
	ds_store_b128 v0, v[4:7]
	ds_store_b128 v0, v[8:11] offset:64
.LBB0_23:
	s_or_b32 exec_lo, exec_lo, s1
	s_waitcnt lgkmcnt(0)
	s_barrier
	buffer_gl0_inv
	ds_load_b128 v[12:15], v99
	ds_load_b128 v[36:39], v99 offset:13440
	ds_load_b128 v[16:19], v105
	ds_load_b128 v[20:23], v104
	ds_load_b128 v[44:47], v99 offset:15232
	ds_load_b128 v[40:43], v99 offset:17024
	ds_load_b128 v[24:27], v103
	ds_load_b128 v[28:31], v102
	ds_load_b128 v[52:55], v99 offset:18816
	;; [unrolled: 4-line block ×3, first 2 shown]
	ds_load_b128 v[56:59], v99 offset:24192
	s_and_saveexec_b32 s1, s0
	s_cbranch_execz .LBB0_25
; %bb.24:
	ds_load_b128 v[4:7], v87
	ds_load_b128 v[8:11], v99 offset:25984
.LBB0_25:
	s_or_b32 exec_lo, exec_lo, s1
	v_and_b32_e32 v72, 7, v84
	s_delay_alu instid0(VALU_DEP_1)
	v_lshlrev_b32_e32 v73, 4, v72
	v_and_or_b32 v71, 0xf0, v71, v72
	v_and_or_b32 v69, 0x1f0, v69, v72
	;; [unrolled: 1-line block ×4, first 2 shown]
	global_load_b128 v[73:76], v73, s[4:5] offset:96
	v_and_or_b32 v66, 0x7f0, v66, v72
	v_and_or_b32 v65, 0x5f0, v65, v72
	;; [unrolled: 1-line block ×3, first 2 shown]
	v_lshl_add_u32 v71, v71, 4, 0
	v_lshl_add_u32 v69, v69, 4, 0
	;; [unrolled: 1-line block ×3, first 2 shown]
	s_waitcnt vmcnt(0) lgkmcnt(0)
	s_barrier
	buffer_gl0_inv
	v_lshl_add_u32 v67, v67, 4, 0
	v_lshl_add_u32 v66, v66, 4, 0
	v_lshl_add_u32 v65, v65, 4, 0
	v_lshl_add_u32 v64, v64, 4, 0
	v_mul_f64 v[77:78], v[38:39], v[75:76]
	v_mul_f64 v[79:80], v[36:37], v[75:76]
	;; [unrolled: 1-line block ×14, first 2 shown]
	v_fma_f64 v[36:37], v[36:37], v[73:74], -v[77:78]
	v_fma_f64 v[38:39], v[38:39], v[73:74], v[79:80]
	v_fma_f64 v[44:45], v[44:45], v[73:74], -v[81:82]
	v_fma_f64 v[46:47], v[46:47], v[73:74], v[106:107]
	;; [unrolled: 2-line block ×7, first 2 shown]
	v_mul_f64 v[112:113], v[10:11], v[75:76]
	v_mul_f64 v[75:76], v[8:9], v[75:76]
	v_add_f64 v[36:37], v[12:13], -v[36:37]
	v_add_f64 v[38:39], v[14:15], -v[38:39]
	;; [unrolled: 1-line block ×14, first 2 shown]
	v_fma_f64 v[77:78], v[8:9], v[73:74], -v[112:113]
	v_fma_f64 v[73:74], v[10:11], v[73:74], v[75:76]
	v_fma_f64 v[8:9], v[12:13], 2.0, -v[36:37]
	v_fma_f64 v[10:11], v[14:15], 2.0, -v[38:39]
	;; [unrolled: 1-line block ×14, first 2 shown]
	v_add_f64 v[0:1], v[4:5], -v[77:78]
	v_add_f64 v[2:3], v[6:7], -v[73:74]
	ds_store_b128 v71, v[8:11]
	ds_store_b128 v71, v[36:39] offset:128
	ds_store_b128 v69, v[12:15]
	ds_store_b128 v69, v[40:43] offset:128
	;; [unrolled: 2-line block ×7, first 2 shown]
	s_and_saveexec_b32 s1, s0
	s_cbranch_execz .LBB0_27
; %bb.26:
	v_fma_f64 v[6:7], v[6:7], 2.0, -v[2:3]
	v_fma_f64 v[4:5], v[4:5], 2.0, -v[0:1]
	v_and_or_b32 v8, 0x6f0, v70, v72
	s_delay_alu instid0(VALU_DEP_1)
	v_lshl_add_u32 v8, v8, 4, 0
	ds_store_b128 v8, v[4:7]
	ds_store_b128 v8, v[0:3] offset:128
.LBB0_27:
	s_or_b32 exec_lo, exec_lo, s1
	v_and_b32_e32 v92, 15, v84
	s_waitcnt lgkmcnt(0)
	s_barrier
	buffer_gl0_inv
	s_mov_b32 s2, 0xe8584caa
	v_lshlrev_b32_e32 v8, 5, v92
	s_mov_b32 s3, 0x3febb67a
	s_mov_b32 s7, 0xbfebb67a
	;; [unrolled: 1-line block ×3, first 2 shown]
	v_cmp_gt_u32_e64 s1, 16, v84
	s_clause 0x1
	global_load_b128 v[4:7], v8, s[4:5] offset:224
	global_load_b128 v[8:11], v8, s[4:5] offset:240
	ds_load_b128 v[12:15], v101
	ds_load_b128 v[16:19], v99 offset:17920
	ds_load_b128 v[20:23], v99 offset:10752
	;; [unrolled: 1-line block ×9, first 2 shown]
	s_waitcnt vmcnt(1) lgkmcnt(9)
	v_mul_f64 v[52:53], v[14:15], v[6:7]
	v_mul_f64 v[54:55], v[12:13], v[6:7]
	s_waitcnt vmcnt(0) lgkmcnt(8)
	v_mul_f64 v[56:57], v[18:19], v[10:11]
	v_mul_f64 v[58:59], v[16:17], v[10:11]
	s_waitcnt lgkmcnt(7)
	v_mul_f64 v[60:61], v[22:23], v[6:7]
	v_mul_f64 v[62:63], v[20:21], v[6:7]
	s_waitcnt lgkmcnt(6)
	;; [unrolled: 3-line block ×7, first 2 shown]
	v_mul_f64 v[106:107], v[46:47], v[6:7]
	s_waitcnt lgkmcnt(0)
	v_mul_f64 v[108:109], v[50:51], v[10:11]
	v_mul_f64 v[6:7], v[44:45], v[6:7]
	;; [unrolled: 1-line block ×3, first 2 shown]
	v_fma_f64 v[52:53], v[12:13], v[4:5], -v[52:53]
	v_fma_f64 v[54:55], v[14:15], v[4:5], v[54:55]
	v_fma_f64 v[56:57], v[16:17], v[8:9], -v[56:57]
	v_fma_f64 v[58:59], v[18:19], v[8:9], v[58:59]
	;; [unrolled: 2-line block ×8, first 2 shown]
	v_fma_f64 v[44:45], v[44:45], v[4:5], -v[106:107]
	v_fma_f64 v[48:49], v[48:49], v[8:9], -v[108:109]
	v_fma_f64 v[46:47], v[46:47], v[4:5], v[6:7]
	v_fma_f64 v[50:51], v[50:51], v[8:9], v[10:11]
	ds_load_b128 v[4:7], v99
	ds_load_b128 v[8:11], v105
	;; [unrolled: 1-line block ×5, first 2 shown]
	s_waitcnt lgkmcnt(0)
	s_barrier
	buffer_gl0_inv
	v_add_f64 v[106:107], v[4:5], v[52:53]
	v_add_f64 v[64:65], v[52:53], v[56:57]
	;; [unrolled: 1-line block ×3, first 2 shown]
	v_add_f64 v[108:109], v[54:55], -v[58:59]
	v_add_f64 v[68:69], v[60:61], v[24:25]
	v_add_f64 v[70:71], v[62:63], v[26:27]
	;; [unrolled: 1-line block ×3, first 2 shown]
	v_add_f64 v[52:53], v[52:53], -v[56:57]
	v_add_f64 v[72:73], v[28:29], v[32:33]
	v_add_f64 v[74:75], v[30:31], v[34:35]
	;; [unrolled: 1-line block ×10, first 2 shown]
	v_add_f64 v[62:63], v[62:63], -v[26:27]
	v_add_f64 v[60:61], v[60:61], -v[24:25]
	v_add_f64 v[118:119], v[16:17], v[36:37]
	v_add_f64 v[120:121], v[18:19], v[38:39]
	;; [unrolled: 1-line block ×4, first 2 shown]
	v_add_f64 v[126:127], v[38:39], -v[42:43]
	v_add_f64 v[128:129], v[36:37], -v[40:41]
	;; [unrolled: 1-line block ×4, first 2 shown]
	v_fma_f64 v[4:5], v[64:65], -0.5, v[4:5]
	v_fma_f64 v[6:7], v[66:67], -0.5, v[6:7]
	;; [unrolled: 1-line block ×4, first 2 shown]
	v_add_f64 v[68:69], v[30:31], -v[34:35]
	v_add_f64 v[8:9], v[106:107], v[56:57]
	v_fma_f64 v[70:71], v[72:73], -0.5, v[12:13]
	v_add_f64 v[72:73], v[28:29], -v[32:33]
	v_fma_f64 v[74:75], v[74:75], -0.5, v[14:15]
	v_add_f64 v[10:11], v[54:55], v[58:59]
	v_fma_f64 v[76:77], v[76:77], -0.5, v[16:17]
	v_fma_f64 v[78:79], v[78:79], -0.5, v[18:19]
	v_add_f64 v[16:17], v[114:115], v[32:33]
	v_fma_f64 v[80:81], v[80:81], -0.5, v[20:21]
	v_add_f64 v[18:19], v[116:117], v[34:35]
	;; [unrolled: 2-line block ×3, first 2 shown]
	v_add_f64 v[14:15], v[112:113], v[26:27]
	v_add_f64 v[20:21], v[118:119], v[40:41]
	;; [unrolled: 1-line block ×5, first 2 shown]
	v_fma_f64 v[28:29], v[108:109], s[2:3], v[4:5]
	v_fma_f64 v[30:31], v[52:53], s[6:7], v[6:7]
	v_fma_f64 v[32:33], v[108:109], s[6:7], v[4:5]
	v_fma_f64 v[34:35], v[52:53], s[2:3], v[6:7]
	v_fma_f64 v[36:37], v[62:63], s[2:3], v[64:65]
	v_fma_f64 v[38:39], v[60:61], s[6:7], v[66:67]
	v_fma_f64 v[40:41], v[62:63], s[6:7], v[64:65]
	v_fma_f64 v[42:43], v[60:61], s[2:3], v[66:67]
	v_fma_f64 v[44:45], v[68:69], s[2:3], v[70:71]
	v_fma_f64 v[46:47], v[72:73], s[6:7], v[74:75]
	v_fma_f64 v[48:49], v[68:69], s[6:7], v[70:71]
	v_fma_f64 v[50:51], v[72:73], s[2:3], v[74:75]
	v_fma_f64 v[52:53], v[126:127], s[2:3], v[76:77]
	v_fma_f64 v[54:55], v[128:129], s[6:7], v[78:79]
	v_fma_f64 v[56:57], v[126:127], s[6:7], v[76:77]
	v_fma_f64 v[58:59], v[128:129], s[2:3], v[78:79]
	v_fma_f64 v[60:61], v[130:131], s[2:3], v[80:81]
	v_fma_f64 v[62:63], v[132:133], s[6:7], v[82:83]
	v_fma_f64 v[4:5], v[130:131], s[6:7], v[80:81]
	v_fma_f64 v[6:7], v[132:133], s[2:3], v[82:83]
	v_lshrrev_b32_e32 v64, 4, v84
	v_lshrrev_b32_e32 v65, 4, v91
	;; [unrolled: 1-line block ×5, first 2 shown]
	v_mul_u32_u24_e32 v64, 48, v64
	v_mul_lo_u32 v65, v65, 48
	v_mul_lo_u32 v66, v66, 48
	;; [unrolled: 1-line block ×4, first 2 shown]
	v_or_b32_e32 v64, v64, v92
	v_or_b32_e32 v65, v65, v92
	;; [unrolled: 1-line block ×5, first 2 shown]
	v_lshl_add_u32 v64, v64, 4, 0
	v_lshl_add_u32 v65, v65, 4, 0
	;; [unrolled: 1-line block ×5, first 2 shown]
	ds_store_b128 v64, v[8:11]
	ds_store_b128 v64, v[28:31] offset:256
	ds_store_b128 v64, v[32:35] offset:512
	ds_store_b128 v65, v[12:15]
	ds_store_b128 v65, v[36:39] offset:256
	ds_store_b128 v65, v[40:43] offset:512
	;; [unrolled: 3-line block ×5, first 2 shown]
	s_waitcnt lgkmcnt(0)
	s_barrier
	buffer_gl0_inv
	ds_load_b128 v[32:35], v99
	ds_load_b128 v[68:71], v99 offset:3840
	ds_load_b128 v[64:67], v99 offset:7680
	ds_load_b128 v[52:55], v99 offset:5632
	ds_load_b128 v[44:47], v99 offset:11520
	ds_load_b128 v[56:59], v99 offset:9472
	ds_load_b128 v[48:51], v99 offset:15360
	ds_load_b128 v[36:39], v99 offset:13312
	ds_load_b128 v[76:79], v99 offset:19200
	ds_load_b128 v[40:43], v99 offset:17152
	ds_load_b128 v[80:83], v99 offset:23040
	ds_load_b128 v[60:63], v99 offset:20992
	ds_load_b128 v[28:31], v105
	ds_load_b128 v[72:75], v99 offset:24832
                                        ; implicit-def: $vgpr26_vgpr27
                                        ; implicit-def: $vgpr22_vgpr23
                                        ; implicit-def: $vgpr18_vgpr19
                                        ; implicit-def: $vgpr14_vgpr15
                                        ; implicit-def: $vgpr10_vgpr11
	s_and_saveexec_b32 s2, s1
	s_cbranch_execz .LBB0_29
; %bb.28:
	ds_load_b128 v[4:7], v104
	ds_load_b128 v[0:3], v99 offset:7424
	ds_load_b128 v[8:11], v99 offset:11264
	;; [unrolled: 1-line block ×6, first 2 shown]
.LBB0_29:
	s_or_b32 exec_lo, exec_lo, s2
	v_and_b32_e32 v92, 0xff, v84
	v_and_b32_e32 v98, 0xff, v91
	s_mov_b32 s10, 0x37e14327
	s_mov_b32 s14, 0xe976ee23
	;; [unrolled: 1-line block ×3, first 2 shown]
	v_mul_lo_u16 v92, 0xab, v92
	v_mul_lo_u16 v98, 0xab, v98
	s_mov_b32 s15, 0xbfe11646
	s_mov_b32 s2, 0x429ad128
	;; [unrolled: 1-line block ×3, first 2 shown]
	v_lshrrev_b16 v92, 13, v92
	s_mov_b32 s3, 0x3febfeb5
	s_mov_b32 s7, 0x3fac98ee
	s_mov_b32 s12, 0xaaaaaaaa
	s_mov_b32 s20, 0xb247c609
	v_mul_lo_u16 v106, v92, 48
	s_mov_b32 s13, 0xbff2aaaa
	s_mov_b32 s16, 0x5476071b
	;; [unrolled: 1-line block ×4, first 2 shown]
	v_sub_nc_u16 v107, v84, v106
	v_lshrrev_b16 v106, 13, v98
	s_mov_b32 s19, 0xbfe77f67
	s_mov_b32 s23, 0xbfd5d0dc
	;; [unrolled: 1-line block ×3, first 2 shown]
	v_and_b32_e32 v98, 0xff, v107
	v_mul_lo_u16 v107, v106, 48
	s_mov_b32 s22, s20
	s_mov_b32 s24, 0x37c3f68c
	;; [unrolled: 1-line block ×3, first 2 shown]
	v_mul_u32_u24_e32 v108, 6, v98
	v_sub_nc_u16 v107, v91, v107
	v_and_b32_e32 v92, 0xffff, v92
	v_and_b32_e32 v106, 0xffff, v106
	v_lshlrev_b32_e32 v98, 4, v98
	v_lshlrev_b32_e32 v144, 4, v108
	v_and_b32_e32 v107, 0xff, v107
	v_mul_u32_u24_e32 v92, 0x1500, v92
	v_mul_u32_u24_e32 v106, 0x1500, v106
	s_clause 0x3
	global_load_b128 v[108:111], v144, s[4:5] offset:736
	global_load_b128 v[112:115], v144, s[4:5] offset:752
	;; [unrolled: 1-line block ×4, first 2 shown]
	v_mul_u32_u24_e32 v124, 6, v107
	v_lshlrev_b32_e32 v107, 4, v107
	v_add3_u32 v92, 0, v92, v98
	s_delay_alu instid0(VALU_DEP_3) | instskip(NEXT) | instid1(VALU_DEP_3)
	v_lshlrev_b32_e32 v152, 4, v124
	v_add3_u32 v98, 0, v106, v107
	s_clause 0x7
	global_load_b128 v[124:127], v152, s[4:5] offset:736
	global_load_b128 v[128:131], v152, s[4:5] offset:752
	;; [unrolled: 1-line block ×8, first 2 shown]
	s_waitcnt vmcnt(0) lgkmcnt(0)
	s_barrier
	buffer_gl0_inv
	v_mul_f64 v[158:159], v[66:67], v[114:115]
	v_mul_f64 v[156:157], v[70:71], v[110:111]
	;; [unrolled: 1-line block ×20, first 2 shown]
	v_fma_f64 v[64:65], v[64:65], v[112:113], -v[158:159]
	v_fma_f64 v[68:69], v[68:69], v[108:109], -v[156:157]
	v_fma_f64 v[70:71], v[70:71], v[108:109], v[110:111]
	v_fma_f64 v[66:67], v[66:67], v[112:113], v[114:115]
	v_fma_f64 v[80:81], v[80:81], v[116:117], -v[160:161]
	v_fma_f64 v[82:83], v[82:83], v[116:117], v[118:119]
	v_fma_f64 v[76:77], v[76:77], v[120:121], -v[162:163]
	v_fma_f64 v[78:79], v[78:79], v[120:121], v[122:123]
	v_mul_f64 v[108:109], v[38:39], v[150:151]
	v_mul_f64 v[110:111], v[36:37], v[150:151]
	;; [unrolled: 1-line block ×4, first 2 shown]
	v_fma_f64 v[52:53], v[52:53], v[124:125], -v[164:165]
	v_fma_f64 v[54:55], v[54:55], v[124:125], v[126:127]
	v_fma_f64 v[56:57], v[56:57], v[128:129], -v[166:167]
	v_fma_f64 v[58:59], v[58:59], v[128:129], v[130:131]
	;; [unrolled: 2-line block ×6, first 2 shown]
	v_add_f64 v[116:117], v[68:69], v[80:81]
	v_add_f64 v[118:119], v[70:71], v[82:83]
	;; [unrolled: 1-line block ×4, first 2 shown]
	v_fma_f64 v[36:37], v[36:37], v[148:149], -v[108:109]
	v_fma_f64 v[38:39], v[38:39], v[148:149], v[110:111]
	v_fma_f64 v[40:41], v[40:41], v[152:153], -v[112:113]
	v_fma_f64 v[42:43], v[42:43], v[152:153], v[114:115]
	v_add_f64 v[64:65], v[64:65], -v[76:77]
	v_add_f64 v[66:67], v[66:67], -v[78:79]
	v_add_f64 v[108:109], v[52:53], v[72:73]
	v_add_f64 v[110:111], v[54:55], v[74:75]
	;; [unrolled: 1-line block ×4, first 2 shown]
	v_add_f64 v[56:57], v[56:57], -v[60:61]
	v_add_f64 v[58:59], v[58:59], -v[62:63]
	v_add_f64 v[124:125], v[44:45], v[48:49]
	v_add_f64 v[126:127], v[46:47], v[50:51]
	v_add_f64 v[44:45], v[48:49], -v[44:45]
	v_add_f64 v[46:47], v[50:51], -v[46:47]
	;; [unrolled: 1-line block ×4, first 2 shown]
	v_add_f64 v[68:69], v[120:121], v[116:117]
	v_add_f64 v[70:71], v[122:123], v[118:119]
	v_add_f64 v[60:61], v[36:37], v[40:41]
	v_add_f64 v[62:63], v[38:39], v[42:43]
	v_add_f64 v[36:37], v[40:41], -v[36:37]
	v_add_f64 v[38:39], v[42:43], -v[38:39]
	;; [unrolled: 1-line block ×4, first 2 shown]
	v_add_f64 v[52:53], v[112:113], v[108:109]
	v_add_f64 v[54:55], v[114:115], v[110:111]
	v_add_f64 v[72:73], v[116:117], -v[124:125]
	v_add_f64 v[74:75], v[118:119], -v[126:127]
	;; [unrolled: 1-line block ×8, first 2 shown]
	v_add_f64 v[64:65], v[44:45], v[64:65]
	v_add_f64 v[66:67], v[46:47], v[66:67]
	v_add_f64 v[44:45], v[48:49], -v[44:45]
	v_add_f64 v[46:47], v[50:51], -v[46:47]
	;; [unrolled: 1-line block ×4, first 2 shown]
	v_add_f64 v[68:69], v[124:125], v[68:69]
	v_add_f64 v[70:71], v[126:127], v[70:71]
	v_add_f64 v[124:125], v[108:109], -v[60:61]
	v_add_f64 v[126:127], v[110:111], -v[62:63]
	v_add_f64 v[132:133], v[36:37], -v[56:57]
	v_add_f64 v[134:135], v[38:39], -v[58:59]
	v_add_f64 v[136:137], v[56:57], -v[40:41]
	v_add_f64 v[138:139], v[58:59], -v[42:43]
	v_add_f64 v[56:57], v[36:37], v[56:57]
	v_add_f64 v[58:59], v[38:39], v[58:59]
	;; [unrolled: 1-line block ×4, first 2 shown]
	v_add_f64 v[60:61], v[60:61], -v[112:113]
	v_add_f64 v[62:63], v[62:63], -v[114:115]
	v_mul_f64 v[72:73], v[72:73], s[10:11]
	v_mul_f64 v[74:75], v[74:75], s[10:11]
	;; [unrolled: 1-line block ×8, first 2 shown]
	v_add_f64 v[36:37], v[40:41], -v[36:37]
	v_add_f64 v[38:39], v[42:43], -v[38:39]
	;; [unrolled: 1-line block ×4, first 2 shown]
	v_add_f64 v[48:49], v[64:65], v[48:49]
	v_add_f64 v[50:51], v[66:67], v[50:51]
	;; [unrolled: 1-line block ×4, first 2 shown]
	v_mul_f64 v[124:125], v[124:125], s[10:11]
	v_mul_f64 v[126:127], v[126:127], s[10:11]
	;; [unrolled: 1-line block ×6, first 2 shown]
	v_add_f64 v[40:41], v[56:57], v[40:41]
	v_add_f64 v[42:43], v[58:59], v[42:43]
	;; [unrolled: 1-line block ×4, first 2 shown]
	v_mul_f64 v[112:113], v[60:61], s[6:7]
	v_mul_f64 v[114:115], v[62:63], s[6:7]
	v_fma_f64 v[56:57], v[76:77], s[6:7], v[72:73]
	v_fma_f64 v[58:59], v[78:79], s[6:7], v[74:75]
	;; [unrolled: 1-line block ×4, first 2 shown]
	v_fma_f64 v[44:45], v[44:45], s[22:23], -v[140:141]
	v_fma_f64 v[46:47], v[46:47], s[22:23], -v[142:143]
	;; [unrolled: 1-line block ×8, first 2 shown]
	v_fma_f64 v[68:69], v[68:69], s[12:13], v[32:33]
	v_fma_f64 v[70:71], v[70:71], s[12:13], v[34:35]
	;; [unrolled: 1-line block ×6, first 2 shown]
	v_fma_f64 v[36:37], v[36:37], s[22:23], -v[144:145]
	v_fma_f64 v[38:39], v[38:39], s[22:23], -v[146:147]
	v_fma_f64 v[124:125], v[108:109], s[18:19], -v[124:125]
	v_fma_f64 v[126:127], v[110:111], s[18:19], -v[126:127]
	v_fma_f64 v[52:53], v[52:53], s[12:13], v[28:29]
	v_fma_f64 v[54:55], v[54:55], s[12:13], v[30:31]
	v_fma_f64 v[120:121], v[136:137], s[2:3], -v[132:133]
	v_fma_f64 v[122:123], v[138:139], s[2:3], -v[134:135]
	;; [unrolled: 1-line block ×4, first 2 shown]
	v_fma_f64 v[76:77], v[48:49], s[24:25], v[76:77]
	v_fma_f64 v[78:79], v[50:51], s[24:25], v[78:79]
	;; [unrolled: 1-line block ×6, first 2 shown]
	v_add_f64 v[56:57], v[56:57], v[68:69]
	v_add_f64 v[58:59], v[58:59], v[70:71]
	;; [unrolled: 1-line block ×6, first 2 shown]
	v_fma_f64 v[116:117], v[40:41], s[24:25], v[116:117]
	v_fma_f64 v[118:119], v[42:43], s[24:25], v[118:119]
	;; [unrolled: 1-line block ×4, first 2 shown]
	v_add_f64 v[132:133], v[60:61], v[52:53]
	v_add_f64 v[134:135], v[62:63], v[54:55]
	;; [unrolled: 1-line block ×4, first 2 shown]
	v_fma_f64 v[120:121], v[40:41], s[24:25], v[120:121]
	v_fma_f64 v[122:123], v[42:43], s[24:25], v[122:123]
	v_add_f64 v[108:109], v[108:109], v[52:53]
	v_add_f64 v[110:111], v[110:111], v[54:55]
	;; [unrolled: 1-line block ×3, first 2 shown]
	v_add_f64 v[38:39], v[58:59], -v[76:77]
	v_add_f64 v[40:41], v[114:115], v[72:73]
	v_add_f64 v[42:43], v[74:75], -v[112:113]
	v_add_f64 v[44:45], v[48:49], -v[82:83]
	v_add_f64 v[46:47], v[80:81], v[50:51]
	v_add_f64 v[48:49], v[82:83], v[48:49]
	v_add_f64 v[50:51], v[50:51], -v[80:81]
	v_add_f64 v[52:53], v[72:73], -v[114:115]
	v_add_f64 v[54:55], v[112:113], v[74:75]
	v_add_f64 v[56:57], v[56:57], -v[78:79]
	v_add_f64 v[58:59], v[76:77], v[58:59]
	v_add_f64 v[60:61], v[118:119], v[132:133]
	v_add_f64 v[62:63], v[134:135], -v[116:117]
	v_add_f64 v[64:65], v[130:131], v[124:125]
	v_add_f64 v[66:67], v[126:127], -v[128:129]
	v_add_f64 v[76:77], v[124:125], -v[130:131]
	v_add_f64 v[78:79], v[128:129], v[126:127]
	v_add_f64 v[68:69], v[108:109], -v[122:123]
	v_add_f64 v[70:71], v[120:121], v[110:111]
	v_add_f64 v[72:73], v[122:123], v[108:109]
	v_add_f64 v[74:75], v[110:111], -v[120:121]
	v_add_f64 v[80:81], v[132:133], -v[118:119]
	v_add_f64 v[82:83], v[116:117], v[134:135]
	ds_store_b128 v92, v[32:35]
	ds_store_b128 v92, v[36:39] offset:768
	ds_store_b128 v92, v[40:43] offset:1536
	;; [unrolled: 1-line block ×6, first 2 shown]
	ds_store_b128 v98, v[28:31]
	ds_store_b128 v98, v[60:63] offset:768
	ds_store_b128 v98, v[64:67] offset:1536
	ds_store_b128 v98, v[68:71] offset:2304
	ds_store_b128 v98, v[72:75] offset:3072
	ds_store_b128 v98, v[76:79] offset:3840
	ds_store_b128 v98, v[80:83] offset:4608
	s_and_saveexec_b32 s26, s1
	s_cbranch_execz .LBB0_31
; %bb.30:
	v_and_b32_e32 v28, 0xffff, v97
	s_delay_alu instid0(VALU_DEP_1) | instskip(NEXT) | instid1(VALU_DEP_1)
	v_mul_u32_u24_e32 v28, 0xaaab, v28
	v_lshrrev_b32_e32 v28, 21, v28
	s_delay_alu instid0(VALU_DEP_1) | instskip(NEXT) | instid1(VALU_DEP_1)
	v_mul_lo_u16 v28, v28, 48
	v_sub_nc_u16 v28, v97, v28
	s_delay_alu instid0(VALU_DEP_1) | instskip(NEXT) | instid1(VALU_DEP_1)
	v_and_b32_e32 v64, 0xffff, v28
	v_mul_u32_u24_e32 v28, 6, v64
	s_delay_alu instid0(VALU_DEP_1)
	v_lshlrev_b32_e32 v48, 4, v28
	s_clause 0x5
	global_load_b128 v[28:31], v48, s[4:5] offset:752
	global_load_b128 v[32:35], v48, s[4:5] offset:800
	;; [unrolled: 1-line block ×6, first 2 shown]
	s_waitcnt vmcnt(5)
	v_mul_f64 v[52:53], v[8:9], v[30:31]
	s_waitcnt vmcnt(4)
	v_mul_f64 v[54:55], v[20:21], v[34:35]
	s_waitcnt vmcnt(3)
	v_mul_f64 v[56:57], v[0:1], v[38:39]
	s_waitcnt vmcnt(2)
	v_mul_f64 v[58:59], v[24:25], v[42:43]
	v_mul_f64 v[30:31], v[10:11], v[30:31]
	v_mul_f64 v[34:35], v[22:23], v[34:35]
	;; [unrolled: 1-line block ×4, first 2 shown]
	s_waitcnt vmcnt(1)
	v_mul_f64 v[60:61], v[18:19], v[46:47]
	s_waitcnt vmcnt(0)
	v_mul_f64 v[62:63], v[14:15], v[50:51]
	v_mul_f64 v[50:51], v[12:13], v[50:51]
	;; [unrolled: 1-line block ×3, first 2 shown]
	v_fma_f64 v[10:11], v[10:11], v[28:29], v[52:53]
	v_fma_f64 v[22:23], v[22:23], v[32:33], v[54:55]
	;; [unrolled: 1-line block ×4, first 2 shown]
	v_fma_f64 v[8:9], v[8:9], v[28:29], -v[30:31]
	v_fma_f64 v[20:21], v[20:21], v[32:33], -v[34:35]
	;; [unrolled: 1-line block ×6, first 2 shown]
	v_fma_f64 v[14:15], v[14:15], v[48:49], v[50:51]
	v_fma_f64 v[18:19], v[18:19], v[44:45], v[46:47]
	v_add_f64 v[28:29], v[10:11], v[22:23]
	v_add_f64 v[10:11], v[10:11], -v[22:23]
	v_add_f64 v[30:31], v[2:3], v[26:27]
	v_add_f64 v[32:33], v[8:9], v[20:21]
	v_add_f64 v[8:9], v[8:9], -v[20:21]
	v_add_f64 v[34:35], v[0:1], v[24:25]
	v_add_f64 v[36:37], v[16:17], -v[12:13]
	v_add_f64 v[12:13], v[12:13], v[16:17]
	v_add_f64 v[20:21], v[14:15], v[18:19]
	v_add_f64 v[16:17], v[0:1], -v[24:25]
	v_add_f64 v[14:15], v[18:19], -v[14:15]
	;; [unrolled: 1-line block ×3, first 2 shown]
	v_add_f64 v[0:1], v[28:29], v[30:31]
	v_add_f64 v[2:3], v[32:33], v[34:35]
	v_add_f64 v[22:23], v[36:37], -v[8:9]
	v_add_f64 v[26:27], v[34:35], -v[12:13]
	v_add_f64 v[24:25], v[30:31], -v[20:21]
	v_add_f64 v[38:39], v[8:9], -v[16:17]
	v_add_f64 v[8:9], v[36:37], v[8:9]
	v_add_f64 v[42:43], v[10:11], -v[18:19]
	v_add_f64 v[36:37], v[16:17], -v[36:37]
	v_add_f64 v[40:41], v[20:21], v[0:1]
	v_add_f64 v[20:21], v[20:21], -v[28:29]
	v_add_f64 v[0:1], v[14:15], -v[10:11]
	v_add_f64 v[10:11], v[14:15], v[10:11]
	v_add_f64 v[44:45], v[12:13], v[2:3]
	v_add_f64 v[12:13], v[12:13], -v[32:33]
	v_mul_f64 v[22:23], v[22:23], s[14:15]
	v_mul_f64 v[26:27], v[26:27], s[10:11]
	;; [unrolled: 1-line block ×4, first 2 shown]
	v_add_f64 v[14:15], v[18:19], -v[14:15]
	v_mul_f64 v[48:49], v[42:43], s[2:3]
	v_add_f64 v[8:9], v[8:9], v[16:17]
	v_add_f64 v[2:3], v[6:7], v[40:41]
	v_add_f64 v[6:7], v[28:29], -v[30:31]
	v_mul_f64 v[28:29], v[20:21], s[6:7]
	v_mul_f64 v[30:31], v[0:1], s[14:15]
	v_add_f64 v[0:1], v[4:5], v[44:45]
	v_add_f64 v[4:5], v[32:33], -v[34:35]
	v_mul_f64 v[32:33], v[12:13], s[6:7]
	v_add_f64 v[10:11], v[10:11], v[18:19]
	v_fma_f64 v[16:17], v[36:37], s[20:21], v[22:23]
	v_fma_f64 v[18:19], v[20:21], s[6:7], v[24:25]
	;; [unrolled: 1-line block ×3, first 2 shown]
	v_fma_f64 v[20:21], v[36:37], s[22:23], -v[46:47]
	v_fma_f64 v[22:23], v[38:39], s[2:3], -v[22:23]
	v_fma_f64 v[34:35], v[40:41], s[12:13], v[2:3]
	v_fma_f64 v[24:25], v[6:7], s[18:19], -v[24:25]
	v_fma_f64 v[6:7], v[6:7], s[16:17], -v[28:29]
	v_fma_f64 v[28:29], v[14:15], s[20:21], v[30:31]
	v_fma_f64 v[36:37], v[44:45], s[12:13], v[0:1]
	v_fma_f64 v[14:15], v[14:15], s[22:23], -v[48:49]
	v_fma_f64 v[26:27], v[4:5], s[18:19], -v[26:27]
	;; [unrolled: 1-line block ×4, first 2 shown]
	v_fma_f64 v[16:17], v[8:9], s[24:25], v[16:17]
	v_fma_f64 v[20:21], v[8:9], s[24:25], v[20:21]
	;; [unrolled: 1-line block ×3, first 2 shown]
	v_add_f64 v[32:33], v[18:19], v[34:35]
	v_add_f64 v[22:23], v[24:25], v[34:35]
	;; [unrolled: 1-line block ×3, first 2 shown]
	v_fma_f64 v[28:29], v[10:11], s[24:25], v[28:29]
	v_add_f64 v[38:39], v[12:13], v[36:37]
	v_fma_f64 v[34:35], v[10:11], s[24:25], v[14:15]
	v_add_f64 v[40:41], v[26:27], v[36:37]
	;; [unrolled: 2-line block ×3, first 2 shown]
	v_add_f64 v[26:27], v[32:33], -v[16:17]
	v_add_f64 v[10:11], v[20:21], v[22:23]
	v_add_f64 v[22:23], v[22:23], -v[20:21]
	v_add_f64 v[6:7], v[16:17], v[32:33]
	v_add_f64 v[24:25], v[28:29], v[38:39]
	v_add_f64 v[14:15], v[18:19], -v[8:9]
	v_add_f64 v[20:21], v[34:35], v[40:41]
	;; [unrolled: 3-line block ×3, first 2 shown]
	v_add_f64 v[8:9], v[40:41], -v[34:35]
	v_add_f64 v[4:5], v[38:39], -v[28:29]
	v_lshl_add_u32 v28, v64, 4, 0
	ds_store_b128 v28, v[0:3] offset:21504
	ds_store_b128 v28, v[24:27] offset:22272
	;; [unrolled: 1-line block ×7, first 2 shown]
.LBB0_31:
	s_or_b32 exec_lo, exec_lo, s26
	v_dual_mov_b32 v1, 0 :: v_dual_lshlrev_b32 v0, 2, v84
	s_waitcnt lgkmcnt(0)
	s_barrier
	buffer_gl0_inv
	s_mov_b32 s10, 0x134454ff
	v_lshlrev_b64 v[2:3], 4, v[0:1]
	v_lshlrev_b32_e32 v0, 2, v91
	s_mov_b32 s11, 0x3fee6f0e
	s_mov_b32 s13, 0xbfee6f0e
	;; [unrolled: 1-line block ×4, first 2 shown]
	v_add_co_u32 v4, s1, s4, v2
	s_delay_alu instid0(VALU_DEP_1) | instskip(SKIP_1) | instid1(VALU_DEP_3)
	v_add_co_ci_u32_e64 v5, s1, s5, v3, s1
	v_lshlrev_b64 v[2:3], 4, v[0:1]
	v_add_co_u32 v14, s1, 0x14e0, v4
	s_delay_alu instid0(VALU_DEP_1) | instskip(SKIP_1) | instid1(VALU_DEP_1)
	v_add_co_ci_u32_e64 v15, s1, 0, v5, s1
	v_add_co_u32 v4, s1, 0x1000, v4
	v_add_co_ci_u32_e64 v5, s1, 0, v5, s1
	v_add_co_u32 v10, s1, s4, v2
	v_lshlrev_b32_e32 v0, 2, v97
	v_add_co_ci_u32_e64 v11, s1, s5, v3, s1
	s_delay_alu instid0(VALU_DEP_3) | instskip(NEXT) | instid1(VALU_DEP_3)
	v_add_co_u32 v18, s1, 0x1000, v10
	v_lshlrev_b64 v[26:27], 4, v[0:1]
	s_delay_alu instid0(VALU_DEP_3) | instskip(SKIP_1) | instid1(VALU_DEP_1)
	v_add_co_ci_u32_e64 v19, s1, 0, v11, s1
	v_add_co_u32 v30, s1, 0x14e0, v10
	v_add_co_ci_u32_e64 v31, s1, 0, v11, s1
	s_delay_alu instid0(VALU_DEP_4) | instskip(NEXT) | instid1(VALU_DEP_1)
	v_add_co_u32 v0, s1, s4, v26
	v_add_co_ci_u32_e64 v36, s1, s5, v27, s1
	s_clause 0x5
	global_load_b128 v[2:5], v[4:5], off offset:1248
	global_load_b128 v[6:9], v[14:15], off offset:48
	global_load_b128 v[10:13], v[14:15], off offset:32
	global_load_b128 v[14:17], v[14:15], off offset:16
	global_load_b128 v[18:21], v[18:19], off offset:1248
	global_load_b128 v[22:25], v[30:31], off offset:48
	v_add_co_u32 v34, s1, 0x1000, v0
	s_delay_alu instid0(VALU_DEP_1) | instskip(SKIP_4) | instid1(VALU_DEP_1)
	v_add_co_ci_u32_e64 v35, s1, 0, v36, s1
	s_clause 0x1
	global_load_b128 v[26:29], v[30:31], off offset:32
	global_load_b128 v[30:33], v[30:31], off offset:16
	v_add_co_u32 v46, s1, 0x14e0, v0
	v_add_co_ci_u32_e64 v47, s1, 0, v36, s1
	s_clause 0x3
	global_load_b128 v[34:37], v[34:35], off offset:1248
	global_load_b128 v[38:41], v[46:47], off offset:16
	;; [unrolled: 1-line block ×4, first 2 shown]
	ds_load_b128 v[50:53], v103
	ds_load_b128 v[54:57], v100
	ds_load_b128 v[58:61], v99 offset:16128
	ds_load_b128 v[62:65], v99 offset:21504
	;; [unrolled: 1-line block ×6, first 2 shown]
	ds_load_b128 v[106:109], v104
	ds_load_b128 v[110:113], v99 offset:8960
	ds_load_b128 v[114:117], v99 offset:14336
	;; [unrolled: 1-line block ×4, first 2 shown]
	s_mov_b32 s3, 0x3fe2cf23
	s_mov_b32 s7, 0xbfe2cf23
	s_mov_b32 s6, s2
	s_waitcnt vmcnt(9) lgkmcnt(10)
	v_mul_f64 v[128:129], v[60:61], v[12:13]
	s_waitcnt vmcnt(8)
	v_mul_f64 v[126:127], v[56:57], v[16:17]
	v_mul_f64 v[16:17], v[54:55], v[16:17]
	;; [unrolled: 1-line block ×5, first 2 shown]
	s_waitcnt lgkmcnt(9)
	v_mul_f64 v[130:131], v[64:65], v[8:9]
	v_mul_f64 v[8:9], v[62:63], v[8:9]
	s_waitcnt vmcnt(4) lgkmcnt(7)
	v_mul_f64 v[134:135], v[72:73], v[32:33]
	s_waitcnt lgkmcnt(6)
	v_mul_f64 v[136:137], v[76:77], v[28:29]
	v_mul_f64 v[32:33], v[70:71], v[32:33]
	;; [unrolled: 1-line block ×5, first 2 shown]
	s_waitcnt lgkmcnt(5)
	v_mul_f64 v[138:139], v[80:81], v[24:25]
	v_mul_f64 v[24:25], v[78:79], v[24:25]
	s_waitcnt vmcnt(2) lgkmcnt(2)
	v_mul_f64 v[142:143], v[116:117], v[40:41]
	s_waitcnt vmcnt(1) lgkmcnt(1)
	v_mul_f64 v[144:145], v[120:121], v[44:45]
	v_mul_f64 v[40:41], v[114:115], v[40:41]
	;; [unrolled: 1-line block ×5, first 2 shown]
	s_waitcnt vmcnt(0) lgkmcnt(0)
	v_mul_f64 v[146:147], v[124:125], v[48:49]
	v_mul_f64 v[48:49], v[122:123], v[48:49]
	v_fma_f64 v[58:59], v[58:59], v[10:11], -v[128:129]
	v_fma_f64 v[54:55], v[54:55], v[14:15], -v[126:127]
	v_fma_f64 v[14:15], v[56:57], v[14:15], v[16:17]
	v_fma_f64 v[10:11], v[60:61], v[10:11], v[12:13]
	v_fma_f64 v[50:51], v[50:51], v[2:3], -v[82:83]
	v_fma_f64 v[52:53], v[52:53], v[2:3], v[4:5]
	v_fma_f64 v[16:17], v[62:63], v[6:7], -v[130:131]
	v_fma_f64 v[56:57], v[64:65], v[6:7], v[8:9]
	v_fma_f64 v[60:61], v[70:71], v[30:31], -v[134:135]
	v_fma_f64 v[62:63], v[74:75], v[26:27], -v[136:137]
	v_fma_f64 v[30:31], v[72:73], v[30:31], v[32:33]
	v_fma_f64 v[26:27], v[76:77], v[26:27], v[28:29]
	v_fma_f64 v[12:13], v[66:67], v[18:19], -v[132:133]
	v_fma_f64 v[18:19], v[68:69], v[18:19], v[20:21]
	v_fma_f64 v[20:21], v[78:79], v[22:23], -v[138:139]
	v_fma_f64 v[22:23], v[80:81], v[22:23], v[24:25]
	;; [unrolled: 8-line block ×3, first 2 shown]
	ds_load_b128 v[2:5], v99
	ds_load_b128 v[6:9], v105
	s_waitcnt lgkmcnt(0)
	s_barrier
	buffer_gl0_inv
	v_add_f64 v[44:45], v[54:55], v[58:59]
	v_add_f64 v[120:121], v[54:55], -v[58:59]
	v_add_f64 v[66:67], v[14:15], v[10:11]
	v_add_f64 v[72:73], v[50:51], -v[54:55]
	v_add_f64 v[80:81], v[54:55], -v[50:51]
	v_add_f64 v[48:49], v[50:51], v[16:17]
	v_add_f64 v[70:71], v[52:53], v[56:57]
	;; [unrolled: 1-line block ×6, first 2 shown]
	v_add_f64 v[64:65], v[52:53], -v[56:57]
	v_add_f64 v[76:77], v[16:17], -v[58:59]
	v_add_f64 v[78:79], v[12:13], v[20:21]
	v_add_f64 v[112:113], v[18:19], v[22:23]
	v_add_f64 v[110:111], v[58:59], -v[16:17]
	v_add_f64 v[116:117], v[28:29], v[32:33]
	v_add_f64 v[50:51], v[50:51], -v[16:17]
	v_add_f64 v[122:123], v[38:39], v[40:41]
	v_add_f64 v[132:133], v[6:7], v[12:13]
	;; [unrolled: 1-line block ×7, first 2 shown]
	v_add_f64 v[68:69], v[14:15], -v[10:11]
	v_add_f64 v[126:127], v[52:53], -v[14:15]
	;; [unrolled: 1-line block ×13, first 2 shown]
	v_fma_f64 v[44:45], v[44:45], -0.5, v[2:3]
	v_add_f64 v[154:155], v[18:19], -v[30:31]
	v_fma_f64 v[66:67], v[66:67], -0.5, v[4:5]
	v_add_f64 v[18:19], v[30:31], -v[18:19]
	v_add_f64 v[158:159], v[24:25], -v[28:29]
	v_fma_f64 v[2:3], v[48:49], -0.5, v[2:3]
	v_fma_f64 v[4:5], v[70:71], -0.5, v[4:5]
	v_add_f64 v[70:71], v[26:27], -v[22:23]
	v_fma_f64 v[74:75], v[74:75], -0.5, v[6:7]
	v_add_f64 v[46:47], v[46:47], v[54:55]
	v_fma_f64 v[82:83], v[82:83], -0.5, v[8:9]
	v_add_f64 v[14:15], v[114:115], v[14:15]
	v_add_f64 v[24:25], v[28:29], -v[24:25]
	v_fma_f64 v[6:7], v[78:79], -0.5, v[6:7]
	v_fma_f64 v[8:9], v[112:113], -0.5, v[8:9]
	v_add_f64 v[78:79], v[38:39], -v[40:41]
	v_fma_f64 v[116:117], v[116:117], -0.5, v[106:107]
	v_add_f64 v[162:163], v[34:35], -v[38:39]
	;; [unrolled: 2-line block ×3, first 2 shown]
	v_add_f64 v[54:55], v[72:73], v[76:77]
	v_fma_f64 v[106:107], v[118:119], -0.5, v[106:107]
	v_add_f64 v[118:119], v[28:29], -v[32:33]
	v_fma_f64 v[108:109], v[124:125], -0.5, v[108:109]
	v_add_f64 v[124:125], v[32:33], -v[36:37]
	v_add_f64 v[72:73], v[80:81], v[110:111]
	v_add_f64 v[60:61], v[132:133], v[60:61]
	;; [unrolled: 1-line block ×5, first 2 shown]
	v_add_f64 v[140:141], v[20:21], -v[62:63]
	v_add_f64 v[144:145], v[62:63], -v[20:21]
	;; [unrolled: 1-line block ×3, first 2 shown]
	v_add_f64 v[76:77], v[126:127], v[128:129]
	v_add_f64 v[48:49], v[22:23], -v[26:27]
	v_add_f64 v[52:53], v[52:53], v[130:131]
	v_add_f64 v[112:113], v[36:37], -v[32:33]
	v_add_f64 v[164:165], v[42:43], -v[40:41]
	v_fma_f64 v[80:81], v[64:65], s[10:11], v[44:45]
	v_fma_f64 v[44:45], v[64:65], s[12:13], v[44:45]
	;; [unrolled: 1-line block ×24, first 2 shown]
	v_add_f64 v[70:71], v[18:19], v[70:71]
	v_add_f64 v[18:19], v[46:47], v[58:59]
	v_add_f64 v[10:11], v[14:15], v[10:11]
	v_add_f64 v[124:125], v[24:25], v[124:125]
	v_add_f64 v[14:15], v[60:61], v[62:63]
	v_add_f64 v[24:25], v[30:31], v[26:27]
	v_add_f64 v[26:27], v[28:29], v[32:33]
	v_add_f64 v[28:29], v[38:39], v[40:41]
	v_add_f64 v[138:139], v[138:139], v[140:141]
	v_add_f64 v[140:141], v[142:143], v[144:145]
	v_add_f64 v[144:145], v[34:35], v[166:167]
	v_add_f64 v[48:49], v[154:155], v[48:49]
	v_add_f64 v[112:113], v[158:159], v[112:113]
	v_fma_f64 v[30:31], v[68:69], s[2:3], v[80:81]
	v_fma_f64 v[32:33], v[68:69], s[6:7], v[44:45]
	;; [unrolled: 1-line block ×4, first 2 shown]
	v_add_f64 v[142:143], v[162:163], v[164:165]
	v_fma_f64 v[34:35], v[64:65], s[2:3], v[110:111]
	v_fma_f64 v[46:47], v[50:51], s[6:7], v[126:127]
	;; [unrolled: 1-line block ×20, first 2 shown]
	s_mov_b32 s2, 0x372fe950
	s_mov_b32 s3, 0x3fd3c6ef
	v_add_f64 v[2:3], v[18:19], v[16:17]
	v_add_f64 v[4:5], v[10:11], v[56:57]
	;; [unrolled: 1-line block ×6, first 2 shown]
	v_fma_f64 v[14:15], v[54:55], s[2:3], v[30:31]
	v_fma_f64 v[18:19], v[54:55], s[2:3], v[32:33]
	;; [unrolled: 1-line block ×24, first 2 shown]
	s_add_u32 s2, s4, 0x68e0
	s_addc_u32 s3, s5, 0
	s_mov_b32 s4, exec_lo
	ds_store_b128 v99, v[2:5]
	ds_store_b128 v99, v[14:17] offset:5376
	ds_store_b128 v99, v[22:25] offset:10752
	ds_store_b128 v99, v[26:29] offset:16128
	ds_store_b128 v99, v[18:21] offset:21504
	ds_store_b128 v105, v[6:9]
	ds_store_b128 v105, v[30:33] offset:5376
	ds_store_b128 v105, v[38:41] offset:10752
	ds_store_b128 v105, v[42:45] offset:16128
	ds_store_b128 v105, v[34:37] offset:21504
	;; [unrolled: 5-line block ×3, first 2 shown]
	s_waitcnt lgkmcnt(0)
	s_barrier
	buffer_gl0_inv
	ds_load_b128 v[4:7], v99
	v_sub_nc_u32_e32 v10, 0, v85
                                        ; implicit-def: $vgpr2_vgpr3
                                        ; implicit-def: $vgpr8_vgpr9
	v_cmpx_ne_u32_e32 0, v84
	s_xor_b32 s4, exec_lo, s4
	s_cbranch_execz .LBB0_33
; %bb.32:
	v_mov_b32_e32 v85, v1
	s_delay_alu instid0(VALU_DEP_1) | instskip(NEXT) | instid1(VALU_DEP_1)
	v_lshlrev_b64 v[0:1], 4, v[84:85]
	v_add_co_u32 v0, s1, s2, v0
	s_delay_alu instid0(VALU_DEP_1)
	v_add_co_ci_u32_e64 v1, s1, s3, v1, s1
	global_load_b128 v[11:14], v[0:1], off
	ds_load_b128 v[0:3], v10 offset:26880
	s_waitcnt lgkmcnt(0)
	v_add_f64 v[8:9], v[4:5], -v[0:1]
	v_add_f64 v[15:16], v[6:7], v[2:3]
	v_add_f64 v[2:3], v[6:7], -v[2:3]
	v_add_f64 v[0:1], v[4:5], v[0:1]
	s_delay_alu instid0(VALU_DEP_4) | instskip(NEXT) | instid1(VALU_DEP_4)
	v_mul_f64 v[6:7], v[8:9], 0.5
	v_mul_f64 v[4:5], v[15:16], 0.5
	s_delay_alu instid0(VALU_DEP_4) | instskip(SKIP_1) | instid1(VALU_DEP_3)
	v_mul_f64 v[2:3], v[2:3], 0.5
	s_waitcnt vmcnt(0)
	v_mul_f64 v[8:9], v[6:7], v[13:14]
	s_delay_alu instid0(VALU_DEP_2) | instskip(SKIP_1) | instid1(VALU_DEP_3)
	v_fma_f64 v[15:16], v[4:5], v[13:14], v[2:3]
	v_fma_f64 v[2:3], v[4:5], v[13:14], -v[2:3]
	v_fma_f64 v[17:18], v[0:1], 0.5, v[8:9]
	v_fma_f64 v[0:1], v[0:1], 0.5, -v[8:9]
	s_delay_alu instid0(VALU_DEP_4) | instskip(NEXT) | instid1(VALU_DEP_4)
	v_fma_f64 v[8:9], -v[11:12], v[6:7], v[15:16]
	v_fma_f64 v[2:3], -v[11:12], v[6:7], v[2:3]
	s_delay_alu instid0(VALU_DEP_4) | instskip(NEXT) | instid1(VALU_DEP_4)
	v_fma_f64 v[13:14], v[4:5], v[11:12], v[17:18]
	v_fma_f64 v[0:1], -v[4:5], v[11:12], v[0:1]
                                        ; implicit-def: $vgpr4_vgpr5
	ds_store_b64 v99, v[13:14]
.LBB0_33:
	s_and_not1_saveexec_b32 s1, s4
	s_cbranch_execz .LBB0_35
; %bb.34:
	s_waitcnt lgkmcnt(0)
	v_add_f64 v[11:12], v[4:5], v[6:7]
	v_add_f64 v[0:1], v[4:5], -v[6:7]
	v_mov_b32_e32 v6, 0
	v_mov_b32_e32 v8, 0
	;; [unrolled: 1-line block ×3, first 2 shown]
	s_delay_alu instid0(VALU_DEP_2)
	v_mov_b32_e32 v2, v8
	ds_load_b64 v[4:5], v6 offset:13448
	v_mov_b32_e32 v3, v9
	s_waitcnt lgkmcnt(0)
	v_xor_b32_e32 v5, 0x80000000, v5
	ds_store_b64 v99, v[11:12]
	ds_store_b64 v6, v[4:5] offset:13448
.LBB0_35:
	s_or_b32 exec_lo, exec_lo, s1
	v_mov_b32_e32 v92, 0
	s_waitcnt lgkmcnt(0)
	s_delay_alu instid0(VALU_DEP_1) | instskip(SKIP_1) | instid1(VALU_DEP_1)
	v_lshlrev_b64 v[4:5], 4, v[91:92]
	v_mov_b32_e32 v98, v92
	v_lshlrev_b64 v[11:12], 4, v[97:98]
	s_delay_alu instid0(VALU_DEP_3) | instskip(NEXT) | instid1(VALU_DEP_1)
	v_add_co_u32 v4, s1, s2, v4
	v_add_co_ci_u32_e64 v5, s1, s3, v5, s1
	v_mov_b32_e32 v97, v92
	s_delay_alu instid0(VALU_DEP_4)
	v_add_co_u32 v11, s1, s2, v11
	global_load_b128 v[4:7], v[4:5], off
	v_add_co_ci_u32_e64 v12, s1, s3, v12, s1
	global_load_b128 v[11:14], v[11:12], off
	ds_store_b64 v99, v[8:9] offset:8
	ds_store_b128 v10, v[0:3] offset:26880
	ds_load_b128 v[0:3], v105
	ds_load_b128 v[15:18], v10 offset:25088
	s_waitcnt lgkmcnt(0)
	v_add_f64 v[8:9], v[0:1], -v[15:16]
	v_add_f64 v[19:20], v[2:3], v[17:18]
	v_add_f64 v[2:3], v[2:3], -v[17:18]
	v_add_f64 v[0:1], v[0:1], v[15:16]
	s_delay_alu instid0(VALU_DEP_4) | instskip(NEXT) | instid1(VALU_DEP_4)
	v_mul_f64 v[8:9], v[8:9], 0.5
	v_mul_f64 v[17:18], v[19:20], 0.5
	s_delay_alu instid0(VALU_DEP_4) | instskip(SKIP_1) | instid1(VALU_DEP_3)
	v_mul_f64 v[2:3], v[2:3], 0.5
	s_waitcnt vmcnt(1)
	v_mul_f64 v[15:16], v[8:9], v[6:7]
	s_delay_alu instid0(VALU_DEP_2) | instskip(SKIP_1) | instid1(VALU_DEP_3)
	v_fma_f64 v[19:20], v[17:18], v[6:7], v[2:3]
	v_fma_f64 v[6:7], v[17:18], v[6:7], -v[2:3]
	v_fma_f64 v[21:22], v[0:1], 0.5, v[15:16]
	v_fma_f64 v[15:16], v[0:1], 0.5, -v[15:16]
	s_delay_alu instid0(VALU_DEP_4) | instskip(NEXT) | instid1(VALU_DEP_4)
	v_fma_f64 v[2:3], -v[4:5], v[8:9], v[19:20]
	v_fma_f64 v[6:7], -v[4:5], v[8:9], v[6:7]
	v_lshlrev_b64 v[8:9], 4, v[96:97]
	v_mov_b32_e32 v96, v92
	s_delay_alu instid0(VALU_DEP_2) | instskip(NEXT) | instid1(VALU_DEP_1)
	v_add_co_u32 v8, s1, s2, v8
	v_add_co_ci_u32_e64 v9, s1, s3, v9, s1
	v_fma_f64 v[0:1], v[17:18], v[4:5], v[21:22]
	v_fma_f64 v[4:5], -v[17:18], v[4:5], v[15:16]
	global_load_b128 v[15:18], v[8:9], off
	ds_store_b128 v105, v[0:3]
	ds_store_b128 v10, v[4:7] offset:25088
	ds_load_b128 v[0:3], v104
	ds_load_b128 v[4:7], v10 offset:23296
	s_waitcnt lgkmcnt(0)
	v_add_f64 v[8:9], v[0:1], -v[4:5]
	v_add_f64 v[19:20], v[2:3], v[6:7]
	v_add_f64 v[2:3], v[2:3], -v[6:7]
	v_add_f64 v[0:1], v[0:1], v[4:5]
	s_delay_alu instid0(VALU_DEP_4) | instskip(NEXT) | instid1(VALU_DEP_4)
	v_mul_f64 v[6:7], v[8:9], 0.5
	v_mul_f64 v[8:9], v[19:20], 0.5
	s_delay_alu instid0(VALU_DEP_4) | instskip(SKIP_1) | instid1(VALU_DEP_3)
	v_mul_f64 v[2:3], v[2:3], 0.5
	s_waitcnt vmcnt(1)
	v_mul_f64 v[4:5], v[6:7], v[13:14]
	s_delay_alu instid0(VALU_DEP_2) | instskip(SKIP_1) | instid1(VALU_DEP_3)
	v_fma_f64 v[19:20], v[8:9], v[13:14], v[2:3]
	v_fma_f64 v[13:14], v[8:9], v[13:14], -v[2:3]
	v_fma_f64 v[21:22], v[0:1], 0.5, v[4:5]
	v_fma_f64 v[4:5], v[0:1], 0.5, -v[4:5]
	s_delay_alu instid0(VALU_DEP_4) | instskip(NEXT) | instid1(VALU_DEP_4)
	v_fma_f64 v[2:3], -v[11:12], v[6:7], v[19:20]
	v_fma_f64 v[6:7], -v[11:12], v[6:7], v[13:14]
	s_delay_alu instid0(VALU_DEP_4) | instskip(NEXT) | instid1(VALU_DEP_4)
	v_fma_f64 v[0:1], v[8:9], v[11:12], v[21:22]
	v_fma_f64 v[4:5], -v[8:9], v[11:12], v[4:5]
	v_lshlrev_b64 v[8:9], 4, v[95:96]
	v_mov_b32_e32 v95, v92
	s_delay_alu instid0(VALU_DEP_2) | instskip(NEXT) | instid1(VALU_DEP_1)
	v_add_co_u32 v8, s1, s2, v8
	v_add_co_ci_u32_e64 v9, s1, s3, v9, s1
	global_load_b128 v[11:14], v[8:9], off
	ds_store_b128 v104, v[0:3]
	ds_store_b128 v10, v[4:7] offset:23296
	ds_load_b128 v[0:3], v103
	ds_load_b128 v[4:7], v10 offset:21504
	s_waitcnt lgkmcnt(0)
	v_add_f64 v[8:9], v[0:1], -v[4:5]
	v_add_f64 v[19:20], v[2:3], v[6:7]
	v_add_f64 v[2:3], v[2:3], -v[6:7]
	v_add_f64 v[0:1], v[0:1], v[4:5]
	s_delay_alu instid0(VALU_DEP_4) | instskip(NEXT) | instid1(VALU_DEP_4)
	v_mul_f64 v[6:7], v[8:9], 0.5
	v_mul_f64 v[8:9], v[19:20], 0.5
	s_delay_alu instid0(VALU_DEP_4) | instskip(SKIP_1) | instid1(VALU_DEP_3)
	v_mul_f64 v[2:3], v[2:3], 0.5
	s_waitcnt vmcnt(1)
	v_mul_f64 v[4:5], v[6:7], v[17:18]
	s_delay_alu instid0(VALU_DEP_2) | instskip(SKIP_1) | instid1(VALU_DEP_3)
	v_fma_f64 v[19:20], v[8:9], v[17:18], v[2:3]
	v_fma_f64 v[17:18], v[8:9], v[17:18], -v[2:3]
	v_fma_f64 v[21:22], v[0:1], 0.5, v[4:5]
	v_fma_f64 v[4:5], v[0:1], 0.5, -v[4:5]
	s_delay_alu instid0(VALU_DEP_4) | instskip(NEXT) | instid1(VALU_DEP_4)
	v_fma_f64 v[2:3], -v[15:16], v[6:7], v[19:20]
	v_fma_f64 v[6:7], -v[15:16], v[6:7], v[17:18]
	s_delay_alu instid0(VALU_DEP_4) | instskip(NEXT) | instid1(VALU_DEP_4)
	v_fma_f64 v[0:1], v[8:9], v[15:16], v[21:22]
	v_fma_f64 v[4:5], -v[8:9], v[15:16], v[4:5]
	v_lshlrev_b64 v[8:9], 4, v[94:95]
	v_mov_b32_e32 v94, v92
	s_delay_alu instid0(VALU_DEP_2) | instskip(NEXT) | instid1(VALU_DEP_1)
	v_add_co_u32 v8, s1, s2, v8
	v_add_co_ci_u32_e64 v9, s1, s3, v9, s1
	global_load_b128 v[15:18], v[8:9], off
	ds_store_b128 v103, v[0:3]
	ds_store_b128 v10, v[4:7] offset:21504
	ds_load_b128 v[0:3], v102
	ds_load_b128 v[4:7], v10 offset:19712
	s_waitcnt lgkmcnt(0)
	v_add_f64 v[8:9], v[0:1], -v[4:5]
	v_add_f64 v[19:20], v[2:3], v[6:7]
	v_add_f64 v[2:3], v[2:3], -v[6:7]
	v_add_f64 v[0:1], v[0:1], v[4:5]
	s_delay_alu instid0(VALU_DEP_4) | instskip(NEXT) | instid1(VALU_DEP_4)
	v_mul_f64 v[6:7], v[8:9], 0.5
	v_mul_f64 v[8:9], v[19:20], 0.5
	s_delay_alu instid0(VALU_DEP_4) | instskip(SKIP_1) | instid1(VALU_DEP_3)
	v_mul_f64 v[2:3], v[2:3], 0.5
	s_waitcnt vmcnt(1)
	v_mul_f64 v[4:5], v[6:7], v[13:14]
	s_delay_alu instid0(VALU_DEP_2) | instskip(SKIP_1) | instid1(VALU_DEP_3)
	v_fma_f64 v[19:20], v[8:9], v[13:14], v[2:3]
	v_fma_f64 v[13:14], v[8:9], v[13:14], -v[2:3]
	v_fma_f64 v[21:22], v[0:1], 0.5, v[4:5]
	v_fma_f64 v[4:5], v[0:1], 0.5, -v[4:5]
	s_delay_alu instid0(VALU_DEP_4) | instskip(NEXT) | instid1(VALU_DEP_4)
	v_fma_f64 v[2:3], -v[11:12], v[6:7], v[19:20]
	v_fma_f64 v[6:7], -v[11:12], v[6:7], v[13:14]
	s_delay_alu instid0(VALU_DEP_4) | instskip(NEXT) | instid1(VALU_DEP_4)
	v_fma_f64 v[0:1], v[8:9], v[11:12], v[21:22]
	v_fma_f64 v[4:5], -v[8:9], v[11:12], v[4:5]
	v_lshlrev_b64 v[8:9], 4, v[93:94]
	s_delay_alu instid0(VALU_DEP_1) | instskip(NEXT) | instid1(VALU_DEP_1)
	v_add_co_u32 v8, s1, s2, v8
	v_add_co_ci_u32_e64 v9, s1, s3, v9, s1
	global_load_b128 v[11:14], v[8:9], off
	ds_store_b128 v102, v[0:3]
	ds_store_b128 v10, v[4:7] offset:19712
	ds_load_b128 v[0:3], v101
	ds_load_b128 v[4:7], v10 offset:17920
	s_waitcnt lgkmcnt(0)
	v_add_f64 v[8:9], v[0:1], -v[4:5]
	v_add_f64 v[19:20], v[2:3], v[6:7]
	v_add_f64 v[2:3], v[2:3], -v[6:7]
	v_add_f64 v[0:1], v[0:1], v[4:5]
	s_delay_alu instid0(VALU_DEP_4) | instskip(NEXT) | instid1(VALU_DEP_4)
	v_mul_f64 v[6:7], v[8:9], 0.5
	v_mul_f64 v[8:9], v[19:20], 0.5
	s_delay_alu instid0(VALU_DEP_4) | instskip(SKIP_1) | instid1(VALU_DEP_3)
	v_mul_f64 v[2:3], v[2:3], 0.5
	s_waitcnt vmcnt(1)
	v_mul_f64 v[4:5], v[6:7], v[17:18]
	s_delay_alu instid0(VALU_DEP_2) | instskip(SKIP_1) | instid1(VALU_DEP_3)
	v_fma_f64 v[19:20], v[8:9], v[17:18], v[2:3]
	v_fma_f64 v[17:18], v[8:9], v[17:18], -v[2:3]
	v_fma_f64 v[21:22], v[0:1], 0.5, v[4:5]
	v_fma_f64 v[4:5], v[0:1], 0.5, -v[4:5]
	s_delay_alu instid0(VALU_DEP_4) | instskip(NEXT) | instid1(VALU_DEP_4)
	v_fma_f64 v[2:3], -v[15:16], v[6:7], v[19:20]
	v_fma_f64 v[6:7], -v[15:16], v[6:7], v[17:18]
	s_delay_alu instid0(VALU_DEP_4) | instskip(NEXT) | instid1(VALU_DEP_4)
	v_fma_f64 v[0:1], v[8:9], v[15:16], v[21:22]
	v_fma_f64 v[4:5], -v[8:9], v[15:16], v[4:5]
	ds_store_b128 v101, v[0:3]
	ds_store_b128 v10, v[4:7] offset:17920
	ds_load_b128 v[0:3], v100
	ds_load_b128 v[4:7], v10 offset:16128
	s_waitcnt lgkmcnt(0)
	v_add_f64 v[8:9], v[0:1], -v[4:5]
	v_add_f64 v[15:16], v[2:3], v[6:7]
	v_add_f64 v[2:3], v[2:3], -v[6:7]
	v_add_f64 v[0:1], v[0:1], v[4:5]
	s_delay_alu instid0(VALU_DEP_4) | instskip(NEXT) | instid1(VALU_DEP_4)
	v_mul_f64 v[6:7], v[8:9], 0.5
	v_mul_f64 v[8:9], v[15:16], 0.5
	s_delay_alu instid0(VALU_DEP_4) | instskip(SKIP_1) | instid1(VALU_DEP_3)
	v_mul_f64 v[2:3], v[2:3], 0.5
	s_waitcnt vmcnt(0)
	v_mul_f64 v[4:5], v[6:7], v[13:14]
	s_delay_alu instid0(VALU_DEP_2) | instskip(SKIP_1) | instid1(VALU_DEP_3)
	v_fma_f64 v[15:16], v[8:9], v[13:14], v[2:3]
	v_fma_f64 v[13:14], v[8:9], v[13:14], -v[2:3]
	v_fma_f64 v[17:18], v[0:1], 0.5, v[4:5]
	v_fma_f64 v[4:5], v[0:1], 0.5, -v[4:5]
	s_delay_alu instid0(VALU_DEP_4) | instskip(NEXT) | instid1(VALU_DEP_4)
	v_fma_f64 v[2:3], -v[11:12], v[6:7], v[15:16]
	v_fma_f64 v[6:7], -v[11:12], v[6:7], v[13:14]
	s_delay_alu instid0(VALU_DEP_4) | instskip(NEXT) | instid1(VALU_DEP_4)
	v_fma_f64 v[0:1], v[8:9], v[11:12], v[17:18]
	v_fma_f64 v[4:5], -v[8:9], v[11:12], v[4:5]
	ds_store_b128 v100, v[0:3]
	ds_store_b128 v10, v[4:7] offset:16128
	s_and_saveexec_b32 s1, s0
	s_cbranch_execz .LBB0_37
; %bb.36:
	v_mov_b32_e32 v91, v92
	s_delay_alu instid0(VALU_DEP_1) | instskip(NEXT) | instid1(VALU_DEP_1)
	v_lshlrev_b64 v[0:1], 4, v[90:91]
	v_add_co_u32 v0, s0, s2, v0
	s_delay_alu instid0(VALU_DEP_1)
	v_add_co_ci_u32_e64 v1, s0, s3, v1, s0
	global_load_b128 v[0:3], v[0:1], off
	ds_load_b128 v[4:7], v87
	ds_load_b128 v[11:14], v10 offset:14336
	s_waitcnt lgkmcnt(0)
	v_add_f64 v[8:9], v[4:5], -v[11:12]
	v_add_f64 v[15:16], v[6:7], v[13:14]
	v_add_f64 v[6:7], v[6:7], -v[13:14]
	v_add_f64 v[4:5], v[4:5], v[11:12]
	s_delay_alu instid0(VALU_DEP_4) | instskip(NEXT) | instid1(VALU_DEP_4)
	v_mul_f64 v[8:9], v[8:9], 0.5
	v_mul_f64 v[13:14], v[15:16], 0.5
	s_delay_alu instid0(VALU_DEP_4) | instskip(SKIP_1) | instid1(VALU_DEP_3)
	v_mul_f64 v[6:7], v[6:7], 0.5
	s_waitcnt vmcnt(0)
	v_mul_f64 v[11:12], v[8:9], v[2:3]
	s_delay_alu instid0(VALU_DEP_2) | instskip(SKIP_1) | instid1(VALU_DEP_3)
	v_fma_f64 v[15:16], v[13:14], v[2:3], v[6:7]
	v_fma_f64 v[2:3], v[13:14], v[2:3], -v[6:7]
	v_fma_f64 v[6:7], v[4:5], 0.5, v[11:12]
	v_fma_f64 v[11:12], v[4:5], 0.5, -v[11:12]
	s_delay_alu instid0(VALU_DEP_4) | instskip(NEXT) | instid1(VALU_DEP_4)
	v_fma_f64 v[4:5], -v[0:1], v[8:9], v[15:16]
	v_fma_f64 v[8:9], -v[0:1], v[8:9], v[2:3]
	s_delay_alu instid0(VALU_DEP_4) | instskip(NEXT) | instid1(VALU_DEP_4)
	v_fma_f64 v[2:3], v[13:14], v[0:1], v[6:7]
	v_fma_f64 v[6:7], -v[13:14], v[0:1], v[11:12]
	ds_store_b128 v87, v[2:5]
	ds_store_b128 v10, v[6:9] offset:14336
.LBB0_37:
	s_or_b32 exec_lo, exec_lo, s1
	s_waitcnt lgkmcnt(0)
	s_barrier
	buffer_gl0_inv
	s_and_saveexec_b32 s0, vcc_lo
	s_cbranch_execz .LBB0_40
; %bb.38:
	v_mov_b32_e32 v85, 0
	ds_load_b128 v[2:5], v99
	ds_load_b128 v[6:9], v99 offset:1792
	ds_load_b128 v[10:13], v99 offset:3584
	;; [unrolled: 1-line block ×3, first 2 shown]
	v_add_co_u32 v0, vcc_lo, s8, v88
	v_add_co_ci_u32_e32 v1, vcc_lo, s9, v89, vcc_lo
	v_lshlrev_b64 v[18:19], 4, v[84:85]
	v_mov_b32_e32 v87, v85
	s_delay_alu instid0(VALU_DEP_2) | instskip(NEXT) | instid1(VALU_DEP_3)
	v_add_co_u32 v34, vcc_lo, v0, v18
	v_add_co_ci_u32_e32 v35, vcc_lo, v1, v19, vcc_lo
	ds_load_b128 v[18:21], v99 offset:7168
	ds_load_b128 v[22:25], v99 offset:8960
	;; [unrolled: 1-line block ×4, first 2 shown]
	v_add_co_u32 v36, vcc_lo, 0x1000, v34
	v_add_co_ci_u32_e32 v37, vcc_lo, 0, v35, vcc_lo
	s_waitcnt lgkmcnt(7)
	global_store_b128 v[34:35], v[2:5], off
	s_waitcnt lgkmcnt(6)
	global_store_b128 v[34:35], v[6:9], off offset:1792
	s_waitcnt lgkmcnt(5)
	global_store_b128 v[34:35], v[10:13], off offset:3584
	;; [unrolled: 2-line block ×3, first 2 shown]
	ds_load_b128 v[2:5], v99 offset:14336
	ds_load_b128 v[6:9], v99 offset:16128
	v_add_co_u32 v10, vcc_lo, 0x2000, v34
	v_lshlrev_b64 v[12:13], 4, v[86:87]
	v_add_co_ci_u32_e32 v11, vcc_lo, 0, v35, vcc_lo
	v_add_co_u32 v38, vcc_lo, 0x3000, v34
	v_add_co_ci_u32_e32 v39, vcc_lo, 0, v35, vcc_lo
	s_waitcnt lgkmcnt(5)
	global_store_b128 v[36:37], v[18:21], off offset:3072
	s_waitcnt lgkmcnt(4)
	global_store_b128 v[10:11], v[22:25], off offset:768
	;; [unrolled: 2-line block ×4, first 2 shown]
	v_add_co_u32 v30, vcc_lo, v0, v12
	v_add_co_ci_u32_e32 v31, vcc_lo, v1, v13, vcc_lo
	ds_load_b128 v[10:13], v99 offset:17920
	ds_load_b128 v[14:17], v99 offset:19712
	;; [unrolled: 1-line block ×5, first 2 shown]
	s_waitcnt lgkmcnt(6)
	global_store_b128 v[30:31], v[2:5], off
	s_waitcnt lgkmcnt(5)
	global_store_b128 v[38:39], v[6:9], off offset:3840
	v_add_co_u32 v2, vcc_lo, 0x4000, v34
	v_add_co_ci_u32_e32 v3, vcc_lo, 0, v35, vcc_lo
	v_add_co_u32 v4, vcc_lo, 0x5000, v34
	v_add_co_ci_u32_e32 v5, vcc_lo, 0, v35, vcc_lo
	;; [unrolled: 2-line block ×3, first 2 shown]
	v_cmp_eq_u32_e32 vcc_lo, 0x6f, v84
	s_waitcnt lgkmcnt(4)
	global_store_b128 v[2:3], v[10:13], off offset:1536
	s_waitcnt lgkmcnt(3)
	global_store_b128 v[2:3], v[14:17], off offset:3328
	;; [unrolled: 2-line block ×5, first 2 shown]
	s_and_b32 exec_lo, exec_lo, vcc_lo
	s_cbranch_execz .LBB0_40
; %bb.39:
	ds_load_b128 v[2:5], v85 offset:26880
	v_add_co_u32 v0, vcc_lo, 0x6000, v0
	v_add_co_ci_u32_e32 v1, vcc_lo, 0, v1, vcc_lo
	s_waitcnt lgkmcnt(0)
	global_store_b128 v[0:1], v[2:5], off offset:2304
.LBB0_40:
	s_nop 0
	s_sendmsg sendmsg(MSG_DEALLOC_VGPRS)
	s_endpgm
	.section	.rodata,"a",@progbits
	.p2align	6, 0x0
	.amdhsa_kernel fft_rtc_fwd_len1680_factors_2_2_2_2_3_7_5_wgs_112_tpt_112_halfLds_dp_ip_CI_unitstride_sbrr_R2C_dirReg
		.amdhsa_group_segment_fixed_size 0
		.amdhsa_private_segment_fixed_size 0
		.amdhsa_kernarg_size 88
		.amdhsa_user_sgpr_count 15
		.amdhsa_user_sgpr_dispatch_ptr 0
		.amdhsa_user_sgpr_queue_ptr 0
		.amdhsa_user_sgpr_kernarg_segment_ptr 1
		.amdhsa_user_sgpr_dispatch_id 0
		.amdhsa_user_sgpr_private_segment_size 0
		.amdhsa_wavefront_size32 1
		.amdhsa_uses_dynamic_stack 0
		.amdhsa_enable_private_segment 0
		.amdhsa_system_sgpr_workgroup_id_x 1
		.amdhsa_system_sgpr_workgroup_id_y 0
		.amdhsa_system_sgpr_workgroup_id_z 0
		.amdhsa_system_sgpr_workgroup_info 0
		.amdhsa_system_vgpr_workitem_id 0
		.amdhsa_next_free_vgpr 176
		.amdhsa_next_free_sgpr 27
		.amdhsa_reserve_vcc 1
		.amdhsa_float_round_mode_32 0
		.amdhsa_float_round_mode_16_64 0
		.amdhsa_float_denorm_mode_32 3
		.amdhsa_float_denorm_mode_16_64 3
		.amdhsa_dx10_clamp 1
		.amdhsa_ieee_mode 1
		.amdhsa_fp16_overflow 0
		.amdhsa_workgroup_processor_mode 1
		.amdhsa_memory_ordered 1
		.amdhsa_forward_progress 0
		.amdhsa_shared_vgpr_count 0
		.amdhsa_exception_fp_ieee_invalid_op 0
		.amdhsa_exception_fp_denorm_src 0
		.amdhsa_exception_fp_ieee_div_zero 0
		.amdhsa_exception_fp_ieee_overflow 0
		.amdhsa_exception_fp_ieee_underflow 0
		.amdhsa_exception_fp_ieee_inexact 0
		.amdhsa_exception_int_div_zero 0
	.end_amdhsa_kernel
	.text
.Lfunc_end0:
	.size	fft_rtc_fwd_len1680_factors_2_2_2_2_3_7_5_wgs_112_tpt_112_halfLds_dp_ip_CI_unitstride_sbrr_R2C_dirReg, .Lfunc_end0-fft_rtc_fwd_len1680_factors_2_2_2_2_3_7_5_wgs_112_tpt_112_halfLds_dp_ip_CI_unitstride_sbrr_R2C_dirReg
                                        ; -- End function
	.section	.AMDGPU.csdata,"",@progbits
; Kernel info:
; codeLenInByte = 15680
; NumSgprs: 29
; NumVgprs: 176
; ScratchSize: 0
; MemoryBound: 0
; FloatMode: 240
; IeeeMode: 1
; LDSByteSize: 0 bytes/workgroup (compile time only)
; SGPRBlocks: 3
; VGPRBlocks: 21
; NumSGPRsForWavesPerEU: 29
; NumVGPRsForWavesPerEU: 176
; Occupancy: 8
; WaveLimiterHint : 1
; COMPUTE_PGM_RSRC2:SCRATCH_EN: 0
; COMPUTE_PGM_RSRC2:USER_SGPR: 15
; COMPUTE_PGM_RSRC2:TRAP_HANDLER: 0
; COMPUTE_PGM_RSRC2:TGID_X_EN: 1
; COMPUTE_PGM_RSRC2:TGID_Y_EN: 0
; COMPUTE_PGM_RSRC2:TGID_Z_EN: 0
; COMPUTE_PGM_RSRC2:TIDIG_COMP_CNT: 0
	.text
	.p2alignl 7, 3214868480
	.fill 96, 4, 3214868480
	.type	__hip_cuid_20e435924fe133d4,@object ; @__hip_cuid_20e435924fe133d4
	.section	.bss,"aw",@nobits
	.globl	__hip_cuid_20e435924fe133d4
__hip_cuid_20e435924fe133d4:
	.byte	0                               ; 0x0
	.size	__hip_cuid_20e435924fe133d4, 1

	.ident	"AMD clang version 19.0.0git (https://github.com/RadeonOpenCompute/llvm-project roc-6.4.0 25133 c7fe45cf4b819c5991fe208aaa96edf142730f1d)"
	.section	".note.GNU-stack","",@progbits
	.addrsig
	.addrsig_sym __hip_cuid_20e435924fe133d4
	.amdgpu_metadata
---
amdhsa.kernels:
  - .args:
      - .actual_access:  read_only
        .address_space:  global
        .offset:         0
        .size:           8
        .value_kind:     global_buffer
      - .offset:         8
        .size:           8
        .value_kind:     by_value
      - .actual_access:  read_only
        .address_space:  global
        .offset:         16
        .size:           8
        .value_kind:     global_buffer
      - .actual_access:  read_only
        .address_space:  global
        .offset:         24
        .size:           8
        .value_kind:     global_buffer
      - .offset:         32
        .size:           8
        .value_kind:     by_value
      - .actual_access:  read_only
        .address_space:  global
        .offset:         40
        .size:           8
        .value_kind:     global_buffer
      - .actual_access:  read_only
        .address_space:  global
        .offset:         48
        .size:           8
        .value_kind:     global_buffer
      - .offset:         56
        .size:           4
        .value_kind:     by_value
      - .actual_access:  read_only
        .address_space:  global
        .offset:         64
        .size:           8
        .value_kind:     global_buffer
      - .actual_access:  read_only
        .address_space:  global
        .offset:         72
        .size:           8
        .value_kind:     global_buffer
      - .address_space:  global
        .offset:         80
        .size:           8
        .value_kind:     global_buffer
    .group_segment_fixed_size: 0
    .kernarg_segment_align: 8
    .kernarg_segment_size: 88
    .language:       OpenCL C
    .language_version:
      - 2
      - 0
    .max_flat_workgroup_size: 112
    .name:           fft_rtc_fwd_len1680_factors_2_2_2_2_3_7_5_wgs_112_tpt_112_halfLds_dp_ip_CI_unitstride_sbrr_R2C_dirReg
    .private_segment_fixed_size: 0
    .sgpr_count:     29
    .sgpr_spill_count: 0
    .symbol:         fft_rtc_fwd_len1680_factors_2_2_2_2_3_7_5_wgs_112_tpt_112_halfLds_dp_ip_CI_unitstride_sbrr_R2C_dirReg.kd
    .uniform_work_group_size: 1
    .uses_dynamic_stack: false
    .vgpr_count:     176
    .vgpr_spill_count: 0
    .wavefront_size: 32
    .workgroup_processor_mode: 1
amdhsa.target:   amdgcn-amd-amdhsa--gfx1100
amdhsa.version:
  - 1
  - 2
...

	.end_amdgpu_metadata
